;; amdgpu-corpus repo=ROCm/rocFFT kind=compiled arch=gfx1030 opt=O3
	.text
	.amdgcn_target "amdgcn-amd-amdhsa--gfx1030"
	.amdhsa_code_object_version 6
	.protected	fft_rtc_fwd_len1360_factors_17_5_16_wgs_255_tpt_85_halfLds_dp_ip_CI_unitstride_sbrr_dirReg ; -- Begin function fft_rtc_fwd_len1360_factors_17_5_16_wgs_255_tpt_85_halfLds_dp_ip_CI_unitstride_sbrr_dirReg
	.globl	fft_rtc_fwd_len1360_factors_17_5_16_wgs_255_tpt_85_halfLds_dp_ip_CI_unitstride_sbrr_dirReg
	.p2align	8
	.type	fft_rtc_fwd_len1360_factors_17_5_16_wgs_255_tpt_85_halfLds_dp_ip_CI_unitstride_sbrr_dirReg,@function
fft_rtc_fwd_len1360_factors_17_5_16_wgs_255_tpt_85_halfLds_dp_ip_CI_unitstride_sbrr_dirReg: ; @fft_rtc_fwd_len1360_factors_17_5_16_wgs_255_tpt_85_halfLds_dp_ip_CI_unitstride_sbrr_dirReg
; %bb.0:
	s_load_dwordx4 s[8:11], s[4:5], 0x0
	v_mul_u32_u24_e32 v1, 0x304, v0
	s_clause 0x1
	s_load_dwordx2 s[2:3], s[4:5], 0x50
	s_load_dwordx2 s[12:13], s[4:5], 0x18
	v_mov_b32_e32 v3, 0
	v_lshrrev_b32_e32 v1, 16, v1
	v_mad_u64_u32 v[48:49], null, s6, 3, v[1:2]
	v_mov_b32_e32 v49, v3
	v_mov_b32_e32 v1, 0
	;; [unrolled: 1-line block ×4, first 2 shown]
	s_waitcnt lgkmcnt(0)
	v_cmp_lt_u64_e64 s0, s[10:11], 2
	v_mov_b32_e32 v8, v49
	s_and_b32 vcc_lo, exec_lo, s0
	s_cbranch_vccnz .LBB0_8
; %bb.1:
	s_load_dwordx2 s[0:1], s[4:5], 0x10
	v_mov_b32_e32 v1, 0
	v_mov_b32_e32 v5, v48
	s_add_u32 s6, s12, 8
	v_mov_b32_e32 v2, 0
	v_mov_b32_e32 v6, v49
	s_addc_u32 s7, s13, 0
	s_mov_b64 s[16:17], 1
	s_waitcnt lgkmcnt(0)
	s_add_u32 s14, s0, 8
	s_addc_u32 s15, s1, 0
.LBB0_2:                                ; =>This Inner Loop Header: Depth=1
	s_load_dwordx2 s[18:19], s[14:15], 0x0
                                        ; implicit-def: $vgpr7_vgpr8
	s_mov_b32 s0, exec_lo
	s_waitcnt lgkmcnt(0)
	v_or_b32_e32 v4, s19, v6
	v_cmpx_ne_u64_e32 0, v[3:4]
	s_xor_b32 s1, exec_lo, s0
	s_cbranch_execz .LBB0_4
; %bb.3:                                ;   in Loop: Header=BB0_2 Depth=1
	v_cvt_f32_u32_e32 v4, s18
	v_cvt_f32_u32_e32 v7, s19
	s_sub_u32 s0, 0, s18
	s_subb_u32 s20, 0, s19
	v_fmac_f32_e32 v4, 0x4f800000, v7
	v_rcp_f32_e32 v4, v4
	v_mul_f32_e32 v4, 0x5f7ffffc, v4
	v_mul_f32_e32 v7, 0x2f800000, v4
	v_trunc_f32_e32 v7, v7
	v_fmac_f32_e32 v4, 0xcf800000, v7
	v_cvt_u32_f32_e32 v7, v7
	v_cvt_u32_f32_e32 v4, v4
	v_mul_lo_u32 v8, s0, v7
	v_mul_hi_u32 v9, s0, v4
	v_mul_lo_u32 v10, s20, v4
	v_add_nc_u32_e32 v8, v9, v8
	v_mul_lo_u32 v9, s0, v4
	v_add_nc_u32_e32 v8, v8, v10
	v_mul_hi_u32 v10, v4, v9
	v_mul_lo_u32 v11, v4, v8
	v_mul_hi_u32 v12, v4, v8
	v_mul_hi_u32 v13, v7, v9
	v_mul_lo_u32 v9, v7, v9
	v_mul_hi_u32 v14, v7, v8
	v_mul_lo_u32 v8, v7, v8
	v_add_co_u32 v10, vcc_lo, v10, v11
	v_add_co_ci_u32_e32 v11, vcc_lo, 0, v12, vcc_lo
	v_add_co_u32 v9, vcc_lo, v10, v9
	v_add_co_ci_u32_e32 v9, vcc_lo, v11, v13, vcc_lo
	v_add_co_ci_u32_e32 v10, vcc_lo, 0, v14, vcc_lo
	v_add_co_u32 v8, vcc_lo, v9, v8
	v_add_co_ci_u32_e32 v9, vcc_lo, 0, v10, vcc_lo
	v_add_co_u32 v4, vcc_lo, v4, v8
	v_add_co_ci_u32_e32 v7, vcc_lo, v7, v9, vcc_lo
	v_mul_hi_u32 v8, s0, v4
	v_mul_lo_u32 v10, s20, v4
	v_mul_lo_u32 v9, s0, v7
	v_add_nc_u32_e32 v8, v8, v9
	v_mul_lo_u32 v9, s0, v4
	v_add_nc_u32_e32 v8, v8, v10
	v_mul_hi_u32 v10, v4, v9
	v_mul_lo_u32 v11, v4, v8
	v_mul_hi_u32 v12, v4, v8
	v_mul_hi_u32 v13, v7, v9
	v_mul_lo_u32 v9, v7, v9
	v_mul_hi_u32 v14, v7, v8
	v_mul_lo_u32 v8, v7, v8
	v_add_co_u32 v10, vcc_lo, v10, v11
	v_add_co_ci_u32_e32 v11, vcc_lo, 0, v12, vcc_lo
	v_add_co_u32 v9, vcc_lo, v10, v9
	v_add_co_ci_u32_e32 v9, vcc_lo, v11, v13, vcc_lo
	v_add_co_ci_u32_e32 v10, vcc_lo, 0, v14, vcc_lo
	v_add_co_u32 v8, vcc_lo, v9, v8
	v_add_co_ci_u32_e32 v9, vcc_lo, 0, v10, vcc_lo
	v_add_co_u32 v4, vcc_lo, v4, v8
	v_add_co_ci_u32_e32 v11, vcc_lo, v7, v9, vcc_lo
	v_mul_hi_u32 v13, v5, v4
	v_mad_u64_u32 v[9:10], null, v6, v4, 0
	v_mad_u64_u32 v[7:8], null, v5, v11, 0
	v_mad_u64_u32 v[11:12], null, v6, v11, 0
	v_add_co_u32 v4, vcc_lo, v13, v7
	v_add_co_ci_u32_e32 v7, vcc_lo, 0, v8, vcc_lo
	v_add_co_u32 v4, vcc_lo, v4, v9
	v_add_co_ci_u32_e32 v4, vcc_lo, v7, v10, vcc_lo
	v_add_co_ci_u32_e32 v7, vcc_lo, 0, v12, vcc_lo
	v_add_co_u32 v4, vcc_lo, v4, v11
	v_add_co_ci_u32_e32 v9, vcc_lo, 0, v7, vcc_lo
	v_mul_lo_u32 v10, s19, v4
	v_mad_u64_u32 v[7:8], null, s18, v4, 0
	v_mul_lo_u32 v11, s18, v9
	v_sub_co_u32 v7, vcc_lo, v5, v7
	v_add3_u32 v8, v8, v11, v10
	v_sub_nc_u32_e32 v10, v6, v8
	v_subrev_co_ci_u32_e64 v10, s0, s19, v10, vcc_lo
	v_add_co_u32 v11, s0, v4, 2
	v_add_co_ci_u32_e64 v12, s0, 0, v9, s0
	v_sub_co_u32 v13, s0, v7, s18
	v_sub_co_ci_u32_e32 v8, vcc_lo, v6, v8, vcc_lo
	v_subrev_co_ci_u32_e64 v10, s0, 0, v10, s0
	v_cmp_le_u32_e32 vcc_lo, s18, v13
	v_cmp_eq_u32_e64 s0, s19, v8
	v_cndmask_b32_e64 v13, 0, -1, vcc_lo
	v_cmp_le_u32_e32 vcc_lo, s19, v10
	v_cndmask_b32_e64 v14, 0, -1, vcc_lo
	v_cmp_le_u32_e32 vcc_lo, s18, v7
	;; [unrolled: 2-line block ×3, first 2 shown]
	v_cndmask_b32_e64 v15, 0, -1, vcc_lo
	v_cmp_eq_u32_e32 vcc_lo, s19, v10
	v_cndmask_b32_e64 v7, v15, v7, s0
	v_cndmask_b32_e32 v10, v14, v13, vcc_lo
	v_add_co_u32 v13, vcc_lo, v4, 1
	v_add_co_ci_u32_e32 v14, vcc_lo, 0, v9, vcc_lo
	v_cmp_ne_u32_e32 vcc_lo, 0, v10
	v_cndmask_b32_e32 v8, v14, v12, vcc_lo
	v_cndmask_b32_e32 v10, v13, v11, vcc_lo
	v_cmp_ne_u32_e32 vcc_lo, 0, v7
	v_cndmask_b32_e32 v8, v9, v8, vcc_lo
	v_cndmask_b32_e32 v7, v4, v10, vcc_lo
.LBB0_4:                                ;   in Loop: Header=BB0_2 Depth=1
	s_andn2_saveexec_b32 s0, s1
	s_cbranch_execz .LBB0_6
; %bb.5:                                ;   in Loop: Header=BB0_2 Depth=1
	v_cvt_f32_u32_e32 v4, s18
	s_sub_i32 s1, 0, s18
	v_rcp_iflag_f32_e32 v4, v4
	v_mul_f32_e32 v4, 0x4f7ffffe, v4
	v_cvt_u32_f32_e32 v4, v4
	v_mul_lo_u32 v7, s1, v4
	v_mul_hi_u32 v7, v4, v7
	v_add_nc_u32_e32 v4, v4, v7
	v_mul_hi_u32 v4, v5, v4
	v_mul_lo_u32 v7, v4, s18
	v_add_nc_u32_e32 v8, 1, v4
	v_sub_nc_u32_e32 v7, v5, v7
	v_subrev_nc_u32_e32 v9, s18, v7
	v_cmp_le_u32_e32 vcc_lo, s18, v7
	v_cndmask_b32_e32 v7, v7, v9, vcc_lo
	v_cndmask_b32_e32 v4, v4, v8, vcc_lo
	v_cmp_le_u32_e32 vcc_lo, s18, v7
	v_add_nc_u32_e32 v8, 1, v4
	v_cndmask_b32_e32 v7, v4, v8, vcc_lo
	v_mov_b32_e32 v8, v3
.LBB0_6:                                ;   in Loop: Header=BB0_2 Depth=1
	s_or_b32 exec_lo, exec_lo, s0
	s_load_dwordx2 s[0:1], s[6:7], 0x0
	v_mul_lo_u32 v4, v8, s18
	v_mul_lo_u32 v11, v7, s19
	v_mad_u64_u32 v[9:10], null, v7, s18, 0
	s_add_u32 s16, s16, 1
	s_addc_u32 s17, s17, 0
	s_add_u32 s6, s6, 8
	s_addc_u32 s7, s7, 0
	;; [unrolled: 2-line block ×3, first 2 shown]
	v_add3_u32 v4, v10, v11, v4
	v_sub_co_u32 v5, vcc_lo, v5, v9
	v_sub_co_ci_u32_e32 v4, vcc_lo, v6, v4, vcc_lo
	s_waitcnt lgkmcnt(0)
	v_mul_lo_u32 v6, s1, v5
	v_mul_lo_u32 v4, s0, v4
	v_mad_u64_u32 v[1:2], null, s0, v5, v[1:2]
	v_cmp_ge_u64_e64 s0, s[16:17], s[10:11]
	s_and_b32 vcc_lo, exec_lo, s0
	v_add3_u32 v2, v6, v2, v4
	s_cbranch_vccnz .LBB0_8
; %bb.7:                                ;   in Loop: Header=BB0_2 Depth=1
	v_mov_b32_e32 v5, v7
	v_mov_b32_e32 v6, v8
	s_branch .LBB0_2
.LBB0_8:
	s_lshl_b64 s[0:1], s[10:11], 3
	v_mul_hi_u32 v3, 0x3030304, v0
	s_add_u32 s0, s12, s0
	s_addc_u32 s1, s13, s1
	v_mov_b32_e32 v98, 0
	s_load_dwordx2 s[0:1], s[0:1], 0x0
	s_load_dwordx2 s[4:5], s[4:5], 0x20
                                        ; implicit-def: $vgpr14_vgpr15
                                        ; implicit-def: $vgpr10_vgpr11
                                        ; implicit-def: $vgpr18_vgpr19
                                        ; implicit-def: $vgpr26_vgpr27
                                        ; implicit-def: $vgpr30_vgpr31
                                        ; implicit-def: $vgpr38_vgpr39
                                        ; implicit-def: $vgpr42_vgpr43
                                        ; implicit-def: $vgpr78_vgpr79
                                        ; implicit-def: $vgpr82_vgpr83
                                        ; implicit-def: $vgpr86_vgpr87
                                        ; implicit-def: $vgpr90_vgpr91
                                        ; implicit-def: $vgpr94_vgpr95
                                        ; implicit-def: $vgpr22_vgpr23
                                        ; implicit-def: $vgpr46_vgpr47
                                        ; implicit-def: $vgpr34_vgpr35
	s_waitcnt lgkmcnt(0)
	v_mul_lo_u32 v4, s0, v8
	v_mul_lo_u32 v5, s1, v7
	v_mad_u64_u32 v[96:97], null, s0, v7, v[1:2]
	v_mul_u32_u24_e32 v1, 0x55, v3
	v_cmp_gt_u64_e32 vcc_lo, s[4:5], v[7:8]
                                        ; implicit-def: $vgpr2_vgpr3
                                        ; implicit-def: $vgpr6_vgpr7
	v_sub_nc_u32_e32 v99, v0, v1
	v_add3_u32 v97, v5, v97, v4
	s_and_saveexec_b32 s1, vcc_lo
	s_cbranch_execz .LBB0_12
; %bb.9:
	s_mov_b32 s4, exec_lo
                                        ; implicit-def: $vgpr4_vgpr5
                                        ; implicit-def: $vgpr32_vgpr33
                                        ; implicit-def: $vgpr44_vgpr45
                                        ; implicit-def: $vgpr20_vgpr21
                                        ; implicit-def: $vgpr0_vgpr1
                                        ; implicit-def: $vgpr92_vgpr93
                                        ; implicit-def: $vgpr88_vgpr89
                                        ; implicit-def: $vgpr84_vgpr85
                                        ; implicit-def: $vgpr80_vgpr81
                                        ; implicit-def: $vgpr76_vgpr77
                                        ; implicit-def: $vgpr40_vgpr41
                                        ; implicit-def: $vgpr36_vgpr37
                                        ; implicit-def: $vgpr28_vgpr29
                                        ; implicit-def: $vgpr24_vgpr25
                                        ; implicit-def: $vgpr16_vgpr17
                                        ; implicit-def: $vgpr8_vgpr9
                                        ; implicit-def: $vgpr12_vgpr13
	v_cmpx_gt_u32_e32 0x50, v99
	s_cbranch_execz .LBB0_11
; %bb.10:
	v_mov_b32_e32 v100, 0
	v_lshlrev_b64 v[0:1], 4, v[96:97]
	v_or_b32_e32 v20, 0x280, v99
	v_lshlrev_b64 v[2:3], 4, v[99:100]
	v_mov_b32_e32 v21, v100
	v_add_co_u32 v51, s0, s2, v0
	v_add_co_ci_u32_e64 v52, s0, s3, v1, s0
	v_lshlrev_b64 v[20:21], 4, v[20:21]
	v_add_co_u32 v0, s0, v51, v2
	v_add_co_ci_u32_e64 v1, s0, v52, v3, s0
	v_add_co_u32 v2, s0, 0x800, v0
	v_add_co_ci_u32_e64 v3, s0, 0, v1, s0
	s_clause 0x3
	global_load_dwordx4 v[4:7], v[0:1], off
	global_load_dwordx4 v[12:15], v[0:1], off offset:1280
	global_load_dwordx4 v[8:11], v[2:3], off offset:512
	;; [unrolled: 1-line block ×3, first 2 shown]
	v_add_co_u32 v2, s0, 0x1000, v0
	v_add_co_ci_u32_e64 v3, s0, 0, v1, s0
	v_add_co_u32 v22, s0, 0x1800, v0
	v_add_co_ci_u32_e64 v23, s0, 0, v1, s0
	;; [unrolled: 2-line block ×5, first 2 shown]
	s_clause 0x5
	global_load_dwordx4 v[24:27], v[2:3], off offset:1024
	global_load_dwordx4 v[28:31], v[22:23], off offset:256
	global_load_dwordx4 v[32:35], v[22:23], off offset:1536
	global_load_dwordx4 v[36:39], v[36:37], off offset:768
	global_load_dwordx4 v[40:43], v[20:21], off
	global_load_dwordx4 v[44:47], v[44:45], off offset:1280
	v_add_co_u32 v2, s0, 0x3000, v0
	v_or_b32_e32 v22, 0x500, v99
	v_mov_b32_e32 v23, v100
	v_add_co_ci_u32_e64 v3, s0, 0, v1, s0
	v_add_co_u32 v20, s0, 0x3800, v0
	v_add_co_ci_u32_e64 v21, s0, 0, v1, s0
	v_add_co_u32 v49, s0, 0x4000, v0
	v_lshlrev_b64 v[22:23], 4, v[22:23]
	v_add_co_ci_u32_e64 v50, s0, 0, v1, s0
	v_add_co_u32 v0, s0, 0x4800, v0
	v_add_co_ci_u32_e64 v1, s0, 0, v1, s0
	v_add_co_u32 v51, s0, v51, v22
	v_add_co_ci_u32_e64 v52, s0, v52, v23, s0
	s_clause 0x6
	global_load_dwordx4 v[76:79], v[2:3], off offset:512
	global_load_dwordx4 v[80:83], v[2:3], off offset:1792
	;; [unrolled: 1-line block ×6, first 2 shown]
	global_load_dwordx4 v[0:3], v[51:52], off
.LBB0_11:
	s_or_b32 exec_lo, exec_lo, s4
	v_mov_b32_e32 v98, v99
.LBB0_12:
	s_or_b32 exec_lo, exec_lo, s1
	s_waitcnt vmcnt(0)
	v_add_f64 v[57:58], v[12:13], v[0:1]
	s_mov_b32 s10, 0x370991
	s_mov_b32 s4, 0x75d4884
	;; [unrolled: 1-line block ×4, first 2 shown]
	v_add_f64 v[71:72], v[14:15], -v[2:3]
	v_add_f64 v[69:70], v[8:9], v[20:21]
	s_mov_b32 s24, 0x5d8e7cdc
	s_mov_b32 s26, 0x2a9d6da3
	;; [unrolled: 1-line block ×6, first 2 shown]
	v_add_f64 v[120:121], v[10:11], -v[22:23]
	v_add_f64 v[65:66], v[16:17], v[92:93]
	s_mov_b32 s28, 0xeb564b22
	s_mov_b32 s14, 0x2b2883cd
	;; [unrolled: 1-line block ×6, first 2 shown]
	v_add_f64 v[126:127], v[18:19], -v[94:95]
	v_mul_f64 v[59:60], v[57:58], s[10:11]
	v_mul_f64 v[73:74], v[57:58], s[4:5]
	v_add_f64 v[110:111], v[24:25], v[88:89]
	s_mov_b32 s34, 0x7c9e640b
	s_mov_b32 s22, 0x6c9a05f6
	;; [unrolled: 1-line block ×3, first 2 shown]
	v_mul_f64 v[104:105], v[69:70], s[4:5]
	v_mul_f64 v[112:113], v[69:70], s[6:7]
	s_mov_b32 s35, 0xbfeca52d
	s_mov_b32 s23, 0xbfe9895b
	;; [unrolled: 1-line block ×3, first 2 shown]
	v_add_f64 v[136:137], v[26:27], -v[90:91]
	s_mov_b32 s18, 0xc61f0d01
	s_mov_b32 s16, 0x910ea3b9
	v_mul_f64 v[118:119], v[65:66], s[14:15]
	v_mul_f64 v[124:125], v[65:66], s[12:13]
	s_mov_b32 s43, 0xbfc7851a
	s_mov_b32 s42, 0xacd6c6b4
	;; [unrolled: 1-line block ×4, first 2 shown]
	v_add_f64 v[114:115], v[30:31], -v[86:87]
	s_mov_b32 s30, 0x923c349f
	v_fma_f64 v[49:50], v[71:72], s[24:25], v[59:60]
	v_fma_f64 v[51:52], v[71:72], s[26:27], v[73:74]
	v_mul_f64 v[128:129], v[110:111], s[6:7]
	v_mul_f64 v[132:133], v[110:111], s[20:21]
	s_mov_b32 s44, 0x4363dd80
	s_mov_b32 s31, 0xbfeec746
	v_fma_f64 v[53:54], v[120:121], s[26:27], v[104:105]
	v_fma_f64 v[55:56], v[120:121], s[28:29], v[112:113]
	s_mov_b32 s45, 0x3fe0d888
	v_add_f64 v[122:123], v[34:35], -v[82:83]
	s_mov_b32 s47, 0x3feec746
	s_mov_b32 s46, s30
	v_add_f64 v[130:131], v[38:39], -v[78:79]
	s_mov_b32 s37, 0xbfe0d888
	v_fma_f64 v[63:64], v[126:127], s[34:35], v[118:119]
	v_fma_f64 v[100:101], v[126:127], s[22:23], v[124:125]
	s_mov_b32 s39, 0x3feca52d
	s_mov_b32 s36, s44
	;; [unrolled: 1-line block ×3, first 2 shown]
	v_add_f64 v[134:135], v[42:43], -v[46:47]
	s_mov_b32 s41, 0x3fd71e95
	s_mov_b32 s40, s24
	v_add_f64 v[61:62], v[49:50], v[4:5]
	v_add_f64 v[51:52], v[51:52], v[4:5]
	;; [unrolled: 1-line block ×3, first 2 shown]
	v_fma_f64 v[102:103], v[136:137], s[28:29], v[128:129]
	v_fma_f64 v[108:109], v[136:137], s[42:43], v[132:133]
	v_mul_hi_u32 v75, 0xaaaaaaab, v48
	v_cmp_gt_u32_e64 s1, 0x50, v99
	v_lshrrev_b32_e32 v75, 1, v75
	v_lshl_add_u32 v75, v75, 1, v75
	v_add_f64 v[61:62], v[53:54], v[61:62]
	v_add_f64 v[51:52], v[55:56], v[51:52]
	;; [unrolled: 1-line block ×3, first 2 shown]
	v_mul_f64 v[67:68], v[49:50], s[18:19]
	v_mul_f64 v[138:139], v[49:50], s[16:17]
	v_add_f64 v[55:56], v[36:37], v[76:77]
	v_sub_nc_u32_e32 v48, v48, v75
	v_mul_u32_u24_e32 v48, 0x550, v48
	v_add_f64 v[61:62], v[63:64], v[61:62]
	v_add_f64 v[51:52], v[100:101], v[51:52]
	v_mul_f64 v[106:107], v[53:54], s[12:13]
	v_mul_f64 v[140:141], v[53:54], s[18:19]
	v_fma_f64 v[63:64], v[114:115], s[30:31], v[67:68]
	v_fma_f64 v[100:101], v[114:115], s[44:45], v[138:139]
	v_mul_f64 v[116:117], v[55:56], s[14:15]
	v_add_f64 v[61:62], v[102:103], v[61:62]
	v_add_f64 v[102:103], v[108:109], v[51:52]
	;; [unrolled: 1-line block ×3, first 2 shown]
	v_mul_f64 v[108:109], v[55:56], s[16:17]
	v_fma_f64 v[142:143], v[122:123], s[22:23], v[106:107]
	v_fma_f64 v[144:145], v[122:123], s[46:47], v[140:141]
	;; [unrolled: 1-line block ×3, first 2 shown]
	v_add_f64 v[146:147], v[63:64], v[61:62]
	v_add_f64 v[100:101], v[100:101], v[102:103]
	v_mul_f64 v[61:62], v[51:52], s[20:21]
	v_mul_f64 v[63:64], v[51:52], s[10:11]
	v_fma_f64 v[102:103], v[130:131], s[36:37], v[108:109]
	v_add_f64 v[142:143], v[142:143], v[146:147]
	v_add_f64 v[100:101], v[144:145], v[100:101]
	v_fma_f64 v[144:145], v[134:135], s[42:43], v[61:62]
	v_fma_f64 v[146:147], v[134:135], s[40:41], v[63:64]
	v_add_f64 v[102:103], v[102:103], v[142:143]
	v_add_f64 v[100:101], v[148:149], v[100:101]
	;; [unrolled: 1-line block ×4, first 2 shown]
	v_lshlrev_b32_e32 v146, 3, v48
	s_and_saveexec_b32 s0, s1
	s_cbranch_execz .LBB0_14
; %bb.13:
	v_add_f64 v[142:143], v[12:13], v[4:5]
	v_mul_f64 v[144:145], v[71:72], s[42:43]
	v_mul_f64 v[149:150], v[71:72], s[36:37]
	;; [unrolled: 1-line block ×14, first 2 shown]
	s_mov_b32 s49, 0x3fe58eea
	s_mov_b32 s48, s26
	s_mov_b32 s51, 0x3fe9895b
	s_mov_b32 s50, s22
	v_mul_f64 v[213:214], v[120:121], s[28:29]
	v_mul_f64 v[177:178], v[136:137], s[36:37]
	;; [unrolled: 1-line block ×3, first 2 shown]
	v_add_f64 v[142:143], v[8:9], v[142:143]
	v_fma_f64 v[233:234], v[57:58], s[20:21], v[144:145]
	v_fma_f64 v[144:145], v[57:58], s[20:21], -v[144:145]
	v_fma_f64 v[237:238], v[57:58], s[16:17], v[149:150]
	v_fma_f64 v[149:150], v[57:58], s[16:17], -v[149:150]
	;; [unrolled: 2-line block ×6, first 2 shown]
	v_add_f64 v[73:74], v[73:74], -v[211:212]
	v_mul_f64 v[181:182], v[136:137], s[40:41]
	v_mul_f64 v[191:192], v[136:137], s[42:43]
	;; [unrolled: 1-line block ×8, first 2 shown]
	v_add_f64 v[142:143], v[16:17], v[142:143]
	v_mul_f64 v[229:230], v[126:127], s[48:49]
	v_mul_f64 v[231:232], v[136:137], s[48:49]
	;; [unrolled: 1-line block ×7, first 2 shown]
	s_mov_b32 s43, 0x3fc7851a
	v_mul_f64 v[169:170], v[126:127], s[36:37]
	v_mul_f64 v[171:172], v[126:127], s[28:29]
	;; [unrolled: 1-line block ×6, first 2 shown]
	v_fma_f64 v[235:236], v[69:70], s[10:11], v[147:148]
	v_fma_f64 v[147:148], v[69:70], s[10:11], -v[147:148]
	v_fma_f64 v[239:240], v[69:70], s[14:15], v[151:152]
	v_fma_f64 v[151:152], v[69:70], s[14:15], -v[151:152]
	;; [unrolled: 2-line block ×3, first 2 shown]
	v_fma_f64 v[247:248], v[69:70], s[16:17], v[159:160]
	v_add_f64 v[142:143], v[24:25], v[142:143]
	v_fma_f64 v[159:160], v[69:70], s[16:17], -v[159:160]
	v_fma_f64 v[163:164], v[69:70], s[20:21], v[165:166]
	v_fma_f64 v[165:166], v[69:70], s[20:21], -v[165:166]
	v_fma_f64 v[253:254], v[69:70], s[12:13], v[167:168]
	v_fma_f64 v[69:70], v[69:70], s[12:13], -v[167:168]
	v_add_f64 v[59:60], v[59:60], -v[71:72]
	v_add_f64 v[57:58], v[57:58], v[4:5]
	v_add_f64 v[112:113], v[112:113], -v[213:214]
	v_add_f64 v[73:74], v[73:74], v[4:5]
	v_add_f64 v[157:158], v[157:158], v[4:5]
	;; [unrolled: 1-line block ×3, first 2 shown]
	v_add_f64 v[132:133], v[132:133], -v[191:192]
	v_fma_f64 v[191:192], v[110:111], s[16:17], v[177:178]
	v_fma_f64 v[177:178], v[110:111], s[16:17], -v[177:178]
	v_add_f64 v[138:139], v[138:139], -v[221:222]
	v_fma_f64 v[221:222], v[110:111], s[14:15], v[179:180]
	v_fma_f64 v[179:180], v[110:111], s[14:15], -v[179:180]
	;; [unrolled: 3-line block ×3, first 2 shown]
	v_add_f64 v[118:119], v[118:119], -v[225:226]
	v_add_f64 v[142:143], v[28:29], v[142:143]
	v_fma_f64 v[225:226], v[110:111], s[18:19], v[199:200]
	v_fma_f64 v[199:200], v[110:111], s[18:19], -v[199:200]
	v_add_f64 v[71:72], v[144:145], v[4:5]
	v_add_f64 v[104:105], v[104:105], -v[120:121]
	v_add_f64 v[120:121], v[128:129], -v[227:228]
	v_add_f64 v[128:129], v[237:238], v[4:5]
	v_fma_f64 v[144:145], v[65:66], s[4:5], v[229:230]
	v_fma_f64 v[227:228], v[65:66], s[4:5], -v[229:230]
	v_add_f64 v[149:150], v[149:150], v[4:5]
	v_fma_f64 v[229:230], v[110:111], s[4:5], v[231:232]
	v_fma_f64 v[231:232], v[110:111], s[4:5], -v[231:232]
	;; [unrolled: 3-line block ×3, first 2 shown]
	v_add_f64 v[136:137], v[153:154], v[4:5]
	v_add_f64 v[233:234], v[233:234], v[4:5]
	v_fma_f64 v[167:168], v[65:66], s[16:17], v[169:170]
	v_fma_f64 v[169:170], v[65:66], s[16:17], -v[169:170]
	v_add_f64 v[124:125], v[124:125], -v[209:210]
	v_fma_f64 v[209:210], v[65:66], s[6:7], v[171:172]
	v_fma_f64 v[171:172], v[65:66], s[6:7], -v[171:172]
	v_add_f64 v[142:143], v[32:33], v[142:143]
	v_fma_f64 v[211:212], v[65:66], s[10:11], v[173:174]
	v_fma_f64 v[173:174], v[65:66], s[10:11], -v[173:174]
	v_fma_f64 v[213:214], v[65:66], s[18:19], v[175:176]
	v_fma_f64 v[175:176], v[65:66], s[18:19], -v[175:176]
	;; [unrolled: 2-line block ×3, first 2 shown]
	v_add_f64 v[126:127], v[245:246], v[4:5]
	v_add_f64 v[249:250], v[249:250], v[4:5]
	;; [unrolled: 1-line block ×14, first 2 shown]
	s_mov_b32 s53, 0x3fefdd0d
	v_add_f64 v[142:143], v[36:37], v[142:143]
	s_mov_b32 s52, s28
	v_mul_f64 v[183:184], v[114:115], s[22:23]
	v_mul_f64 v[185:186], v[114:115], s[24:25]
	v_mul_f64 v[197:198], v[114:115], s[34:35]
	v_mul_f64 v[235:236], v[114:115], s[30:31]
	v_mul_f64 v[147:148], v[122:123], s[22:23]
	v_add_f64 v[59:60], v[247:248], v[126:127]
	v_add_f64 v[163:164], v[163:164], v[249:250]
	;; [unrolled: 1-line block ×4, first 2 shown]
	v_mul_f64 v[247:248], v[114:115], s[52:53]
	v_mul_f64 v[114:115], v[114:115], s[48:49]
	v_add_f64 v[57:58], v[65:66], v[57:58]
	v_add_f64 v[73:74], v[124:125], v[73:74]
	;; [unrolled: 1-line block ×11, first 2 shown]
	v_mul_f64 v[207:208], v[122:123], s[24:25]
	v_fma_f64 v[112:113], v[49:50], s[10:11], v[185:186]
	v_fma_f64 v[185:186], v[49:50], s[10:11], -v[185:186]
	v_fma_f64 v[104:105], v[49:50], s[20:21], v[187:188]
	v_fma_f64 v[187:188], v[49:50], s[20:21], -v[187:188]
	v_add_f64 v[59:60], v[144:145], v[59:60]
	v_add_f64 v[144:145], v[213:214], v[163:164]
	;; [unrolled: 1-line block ×4, first 2 shown]
	v_fma_f64 v[233:234], v[49:50], s[14:15], v[197:198]
	v_fma_f64 v[197:198], v[49:50], s[14:15], -v[197:198]
	v_add_f64 v[106:107], v[106:107], -v[147:148]
	v_fma_f64 v[118:119], v[49:50], s[6:7], v[247:248]
	v_fma_f64 v[147:148], v[49:50], s[6:7], -v[247:248]
	v_fma_f64 v[163:164], v[49:50], s[4:5], v[114:115]
	v_add_f64 v[57:58], v[199:200], v[57:58]
	v_add_f64 v[73:74], v[132:133], v[73:74]
	v_mul_f64 v[201:202], v[122:123], s[38:39]
	v_mul_f64 v[203:204], v[122:123], s[26:27]
	;; [unrolled: 1-line block ×3, first 2 shown]
	v_add_f64 v[69:70], v[44:45], v[142:143]
	v_fma_f64 v[142:143], v[49:50], s[12:13], v[183:184]
	v_fma_f64 v[183:184], v[49:50], s[12:13], -v[183:184]
	v_fma_f64 v[48:49], v[49:50], s[4:5], -v[114:115]
	v_mul_f64 v[122:123], v[122:123], s[52:53]
	v_add_f64 v[157:158], v[179:180], v[157:158]
	v_add_f64 v[132:133], v[181:182], v[161:162]
	;; [unrolled: 1-line block ×11, first 2 shown]
	v_add_f64 v[67:68], v[67:68], -v[235:236]
	v_add_f64 v[4:5], v[120:121], v[4:5]
	v_mul_f64 v[219:220], v[130:131], s[28:29]
	v_mul_f64 v[245:246], v[130:131], s[38:39]
	v_fma_f64 v[173:174], v[53:54], s[10:11], v[207:208]
	v_fma_f64 v[207:208], v[53:54], s[10:11], -v[207:208]
	v_add_f64 v[69:70], v[76:77], v[69:70]
	v_mul_f64 v[215:216], v[130:131], s[30:31]
	v_mul_f64 v[217:218], v[130:131], s[24:25]
	v_add_f64 v[48:49], v[48:49], v[57:58]
	v_add_f64 v[57:58], v[138:139], v[73:74]
	v_mul_f64 v[239:240], v[130:131], s[36:37]
	v_mul_f64 v[165:166], v[130:131], s[48:49]
	;; [unrolled: 1-line block ×3, first 2 shown]
	v_fma_f64 v[169:170], v[53:54], s[14:15], v[201:202]
	v_fma_f64 v[201:202], v[53:54], s[14:15], -v[201:202]
	v_fma_f64 v[209:210], v[53:54], s[20:21], v[189:190]
	v_fma_f64 v[189:190], v[53:54], s[20:21], -v[189:190]
	;; [unrolled: 2-line block ×5, first 2 shown]
	v_add_f64 v[122:123], v[187:188], v[157:158]
	v_add_f64 v[73:74], v[197:198], v[132:133]
	;; [unrolled: 1-line block ×13, first 2 shown]
	v_mul_f64 v[126:127], v[134:135], s[36:37]
	v_mul_f64 v[159:160], v[134:135], s[40:41]
	v_fma_f64 v[124:125], v[55:56], s[6:7], v[219:220]
	v_fma_f64 v[219:220], v[55:56], s[6:7], -v[219:220]
	v_add_f64 v[116:117], v[116:117], -v[245:246]
	v_add_f64 v[48:49], v[207:208], v[48:49]
	v_add_f64 v[57:58], v[140:141], v[57:58]
	v_mul_f64 v[151:152], v[134:135], s[30:31]
	v_mul_f64 v[243:244], v[134:135], s[38:39]
	;; [unrolled: 1-line block ×5, first 2 shown]
	v_fma_f64 v[227:228], v[55:56], s[18:19], v[215:216]
	v_add_f64 v[69:70], v[84:85], v[69:70]
	v_fma_f64 v[215:216], v[55:56], s[18:19], -v[215:216]
	v_fma_f64 v[175:176], v[55:56], s[20:21], v[195:196]
	v_fma_f64 v[195:196], v[55:56], s[20:21], -v[195:196]
	v_fma_f64 v[65:66], v[55:56], s[10:11], v[217:218]
	;; [unrolled: 2-line block ×4, first 2 shown]
	v_fma_f64 v[55:56], v[55:56], s[12:13], -v[130:131]
	v_add_f64 v[53:54], v[53:54], v[122:123]
	v_add_f64 v[73:74], v[205:206], v[73:74]
	;; [unrolled: 1-line block ×11, first 2 shown]
	v_add_f64 v[108:109], v[108:109], -v[239:240]
	v_add_f64 v[67:68], v[88:89], v[69:70]
	v_add_f64 v[4:5], v[106:107], v[4:5]
	v_fma_f64 v[106:107], v[51:52], s[16:17], -v[126:127]
	v_add_f64 v[63:64], v[63:64], -v[159:160]
	v_add_f64 v[48:49], v[219:220], v[48:49]
	v_add_f64 v[57:58], v[116:117], v[57:58]
	v_fma_f64 v[120:121], v[51:52], s[18:19], v[151:152]
	v_fma_f64 v[151:152], v[51:52], s[18:19], -v[151:152]
	v_fma_f64 v[161:162], v[51:52], s[14:15], v[243:244]
	v_fma_f64 v[167:168], v[51:52], s[14:15], -v[243:244]
	;; [unrolled: 2-line block ×3, first 2 shown]
	v_fma_f64 v[138:139], v[51:52], s[16:17], v[126:127]
	v_fma_f64 v[126:127], v[51:52], s[6:7], v[251:252]
	v_fma_f64 v[130:131], v[51:52], s[6:7], -v[251:252]
	v_fma_f64 v[132:133], v[51:52], s[4:5], v[134:135]
	v_fma_f64 v[50:51], v[51:52], s[4:5], -v[134:135]
	v_add_f64 v[52:53], v[217:218], v[53:54]
	v_add_f64 v[54:55], v[55:56], v[73:74]
	;; [unrolled: 1-line block ×12, first 2 shown]
	v_add_f64 v[61:62], v[61:62], -v[193:194]
	v_add_f64 v[4:5], v[108:109], v[4:5]
	v_add_f64 v[48:49], v[106:107], v[48:49]
	;; [unrolled: 1-line block ×16, first 2 shown]
	v_mul_u32_u24_e32 v62, 0x88, v99
	v_add3_u32 v62, 0, v62, v146
	v_add_f64 v[60:61], v[0:1], v[67:68]
	ds_write2_b64 v62, v[56:57], v[48:49] offset0:2 offset1:3
	ds_write2_b64 v62, v[50:51], v[52:53] offset0:4 offset1:5
	;; [unrolled: 1-line block ×7, first 2 shown]
	ds_write2_b64 v62, v[60:61], v[4:5] offset1:1
	ds_write_b64 v62, v[102:103] offset:128
.LBB0_14:
	s_or_b32 exec_lo, exec_lo, s0
	v_lshlrev_b32_e32 v4, 3, v99
	s_waitcnt lgkmcnt(0)
	s_barrier
	buffer_gl0_inv
	v_cmp_gt_u32_e64 s0, 17, v99
	v_add_nc_u32_e32 v149, 0, v4
	v_add3_u32 v148, 0, v146, v4
                                        ; implicit-def: $vgpr104_vgpr105
                                        ; implicit-def: $vgpr106_vgpr107
                                        ; implicit-def: $vgpr108_vgpr109
	v_add_nc_u32_e32 v147, v149, v146
	ds_read_b64 v[110:111], v148
	v_add_nc_u32_e32 v4, 0x800, v147
	v_add_nc_u32_e32 v5, 0xc00, v147
	;; [unrolled: 1-line block ×6, first 2 shown]
	ds_read2_b64 v[48:51], v147 offset0:85 offset1:170
	ds_read2_b64 v[68:71], v4 offset0:16 offset1:101
	;; [unrolled: 1-line block ×7, first 2 shown]
	s_and_saveexec_b32 s4, s0
	s_cbranch_execz .LBB0_16
; %bb.15:
	ds_read_b64 v[100:101], v147 offset:2040
	ds_read_b64 v[102:103], v147 offset:4216
	;; [unrolled: 1-line block ×5, first 2 shown]
.LBB0_16:
	s_or_b32 exec_lo, exec_lo, s4
	v_add_f64 v[136:137], v[12:13], -v[0:1]
	s_mov_b32 s14, 0x5d8e7cdc
	s_mov_b32 s28, 0x2a9d6da3
	;; [unrolled: 1-line block ×4, first 2 shown]
	v_add_f64 v[4:5], v[14:15], v[2:3]
	v_add_f64 v[130:131], v[8:9], -v[20:21]
	s_mov_b32 s18, 0x370991
	s_mov_b32 s6, 0x75d4884
	s_mov_b32 s26, 0xeb564b22
	s_mov_b32 s19, 0x3fedd6d0
	s_mov_b32 s7, 0x3fe7a5f6
	s_mov_b32 s27, 0xbfefdd0d
	v_add_f64 v[124:125], v[10:11], v[22:23]
	v_add_f64 v[112:113], v[16:17], -v[92:93]
	s_mov_b32 s4, 0x3259b75e
	s_mov_b32 s38, 0x7c9e640b
	;; [unrolled: 1-line block ×6, first 2 shown]
	v_add_f64 v[92:93], v[18:19], v[94:95]
	v_mul_f64 v[144:145], v[136:137], s[14:15]
	v_mul_f64 v[142:143], v[136:137], s[28:29]
	v_add_f64 v[114:115], v[24:25], -v[88:89]
	s_mov_b32 s10, 0x2b2883cd
	s_mov_b32 s30, 0xacd6c6b4
	;; [unrolled: 1-line block ×3, first 2 shown]
	v_mul_f64 v[140:141], v[130:131], s[28:29]
	v_mul_f64 v[138:139], v[130:131], s[26:27]
	s_mov_b32 s31, 0xbfc7851a
	v_add_f64 v[88:89], v[26:27], v[90:91]
	v_add_f64 v[24:25], v[28:29], -v[84:85]
	s_mov_b32 s36, 0x7faef3
	s_mov_b32 s20, 0x923c349f
	;; [unrolled: 1-line block ×3, first 2 shown]
	v_mul_f64 v[134:135], v[112:113], s[38:39]
	v_mul_f64 v[132:133], v[112:113], s[16:17]
	s_mov_b32 s37, 0xbfef7484
	s_mov_b32 s21, 0xbfeec746
	;; [unrolled: 1-line block ×3, first 2 shown]
	v_add_f64 v[20:21], v[30:31], v[86:87]
	v_add_f64 v[84:85], v[32:33], -v[80:81]
	s_mov_b32 s22, 0xc61f0d01
	v_fma_f64 v[0:1], v[4:5], s[18:19], -v[144:145]
	v_fma_f64 v[8:9], v[4:5], s[6:7], -v[142:143]
	v_mul_f64 v[128:129], v[114:115], s[26:27]
	v_mul_f64 v[126:127], v[114:115], s[30:31]
	s_mov_b32 s24, 0x910ea3b9
	s_mov_b32 s23, 0xbfd183b1
	v_fma_f64 v[12:13], v[124:125], s[6:7], -v[140:141]
	v_fma_f64 v[16:17], v[124:125], s[4:5], -v[138:139]
	s_mov_b32 s25, 0xbfeb34fa
	s_mov_b32 s43, 0x3feec746
	v_mul_f64 v[122:123], v[24:25], s[20:21]
	v_mul_f64 v[120:121], v[24:25], s[46:47]
	s_mov_b32 s42, s20
	v_add_f64 v[80:81], v[82:83], v[34:35]
	v_fma_f64 v[28:29], v[92:93], s[10:11], -v[134:135]
	v_fma_f64 v[116:117], v[92:93], s[12:13], -v[132:133]
	s_mov_b32 s41, 0xbfe0d888
	s_mov_b32 s35, 0x3feca52d
	;; [unrolled: 1-line block ×4, first 2 shown]
	v_mul_f64 v[118:119], v[84:85], s[16:17]
	s_mov_b32 s45, 0x3fd71e95
	v_add_f64 v[0:1], v[0:1], v[6:7]
	v_add_f64 v[8:9], v[8:9], v[6:7]
	s_mov_b32 s44, s14
	v_fma_f64 v[32:33], v[88:89], s[36:37], -v[126:127]
	s_waitcnt lgkmcnt(0)
	s_barrier
	buffer_gl0_inv
	v_fma_f64 v[150:151], v[80:81], s[12:13], -v[118:119]
	v_add_f64 v[0:1], v[12:13], v[0:1]
	v_add_f64 v[8:9], v[16:17], v[8:9]
	v_fma_f64 v[12:13], v[88:89], s[4:5], -v[128:129]
	v_add_f64 v[16:17], v[36:37], -v[76:77]
	v_fma_f64 v[36:37], v[20:21], s[24:25], -v[120:121]
	v_add_f64 v[0:1], v[28:29], v[0:1]
	v_add_f64 v[8:9], v[116:117], v[8:9]
	v_mul_f64 v[116:117], v[84:85], s[42:43]
	v_fma_f64 v[28:29], v[20:21], s[22:23], -v[122:123]
	v_mul_f64 v[76:77], v[16:17], s[40:41]
	v_add_f64 v[0:1], v[12:13], v[0:1]
	v_add_f64 v[32:33], v[32:33], v[8:9]
	;; [unrolled: 1-line block ×3, first 2 shown]
	v_add_f64 v[8:9], v[40:41], -v[44:45]
	v_mul_f64 v[44:45], v[16:17], s[34:35]
	v_fma_f64 v[152:153], v[80:81], s[22:23], -v[116:117]
	v_add_f64 v[28:29], v[28:29], v[0:1]
	v_add_f64 v[32:33], v[36:37], v[32:33]
	;; [unrolled: 1-line block ×3, first 2 shown]
	v_mul_f64 v[40:41], v[8:9], s[30:31]
	v_mul_f64 v[36:37], v[8:9], s[44:45]
	v_fma_f64 v[154:155], v[12:13], s[24:25], -v[76:77]
	v_fma_f64 v[156:157], v[12:13], s[10:11], -v[44:45]
	v_add_f64 v[28:29], v[150:151], v[28:29]
	v_add_f64 v[32:33], v[152:153], v[32:33]
	v_fma_f64 v[150:151], v[0:1], s[36:37], -v[40:41]
	v_fma_f64 v[152:153], v[0:1], s[18:19], -v[36:37]
	v_add_f64 v[28:29], v[154:155], v[28:29]
	v_add_f64 v[154:155], v[156:157], v[32:33]
	;; [unrolled: 1-line block ×4, first 2 shown]
	s_and_saveexec_b32 s33, s1
	s_cbranch_execz .LBB0_18
; %bb.17:
	v_add_f64 v[14:15], v[14:15], v[6:7]
	s_mov_b32 s49, 0x3fc7851a
	s_mov_b32 s48, s30
	v_mul_f64 v[166:167], v[112:113], s[40:41]
	v_mul_f64 v[168:169], v[112:113], s[48:49]
	s_mov_b32 s49, 0x3fe9895b
	s_mov_b32 s48, s16
	v_add_f64 v[10:11], v[10:11], v[14:15]
	v_mul_f64 v[14:15], v[4:5], s[18:19]
	v_fma_f64 v[176:177], v[92:93], s[24:25], v[166:167]
	v_fma_f64 v[166:167], v[92:93], s[24:25], -v[166:167]
	v_fma_f64 v[178:179], v[92:93], s[36:37], v[168:169]
	v_fma_f64 v[168:169], v[92:93], s[36:37], -v[168:169]
	v_add_f64 v[10:11], v[18:19], v[10:11]
	v_mul_f64 v[18:19], v[4:5], s[6:7]
	v_add_f64 v[14:15], v[14:15], v[144:145]
	v_mul_f64 v[144:145], v[130:131], s[34:35]
	;; [unrolled: 2-line block ×3, first 2 shown]
	v_add_f64 v[18:19], v[18:19], v[142:143]
	v_add_f64 v[14:15], v[14:15], v[6:7]
	v_mul_f64 v[142:143], v[130:131], s[42:43]
	v_fma_f64 v[162:163], v[124:125], s[10:11], v[144:145]
	v_fma_f64 v[144:145], v[124:125], s[10:11], -v[144:145]
	v_add_f64 v[10:11], v[30:31], v[10:11]
	v_mul_f64 v[30:31], v[136:137], s[26:27]
	v_add_f64 v[18:19], v[18:19], v[6:7]
	v_fma_f64 v[160:161], v[124:125], s[22:23], v[142:143]
	v_fma_f64 v[142:143], v[124:125], s[22:23], -v[142:143]
	v_add_f64 v[10:11], v[34:35], v[10:11]
	v_mul_f64 v[34:35], v[136:137], s[20:21]
	v_add_f64 v[10:11], v[38:39], v[10:11]
	v_mul_f64 v[38:39], v[136:137], s[16:17]
	;; [unrolled: 2-line block ×4, first 2 shown]
	v_add_f64 v[10:11], v[78:79], v[10:11]
	v_fma_f64 v[78:79], v[4:5], s[10:11], v[26:27]
	v_fma_f64 v[26:27], v[4:5], s[10:11], -v[26:27]
	v_fma_f64 v[136:137], v[4:5], s[36:37], v[46:47]
	v_add_f64 v[10:11], v[82:83], v[10:11]
	v_fma_f64 v[82:83], v[4:5], s[4:5], v[30:31]
	v_fma_f64 v[30:31], v[4:5], s[4:5], -v[30:31]
	v_add_f64 v[26:27], v[26:27], v[6:7]
	v_add_f64 v[10:11], v[86:87], v[10:11]
	v_fma_f64 v[86:87], v[4:5], s[22:23], v[34:35]
	v_fma_f64 v[34:35], v[4:5], s[22:23], -v[34:35]
	v_add_f64 v[30:31], v[30:31], v[6:7]
	v_add_f64 v[10:11], v[90:91], v[10:11]
	v_fma_f64 v[90:91], v[4:5], s[12:13], v[38:39]
	v_fma_f64 v[38:39], v[4:5], s[12:13], -v[38:39]
	v_add_f64 v[34:35], v[34:35], v[6:7]
	v_add_f64 v[10:11], v[94:95], v[10:11]
	v_fma_f64 v[94:95], v[4:5], s[24:25], v[42:43]
	v_fma_f64 v[42:43], v[4:5], s[24:25], -v[42:43]
	v_fma_f64 v[4:5], v[4:5], s[36:37], -v[46:47]
	v_add_f64 v[46:47], v[78:79], v[6:7]
	v_add_f64 v[78:79], v[82:83], v[6:7]
	;; [unrolled: 1-line block ×9, first 2 shown]
	v_mul_f64 v[6:7], v[124:125], s[6:7]
	v_add_f64 v[4:5], v[22:23], v[10:11]
	v_mul_f64 v[10:11], v[130:131], s[30:31]
	v_add_f64 v[38:39], v[142:143], v[38:39]
	v_add_f64 v[42:43], v[144:145], v[42:43]
	;; [unrolled: 1-line block ×3, first 2 shown]
	v_mul_f64 v[6:7], v[124:125], s[4:5]
	v_mul_f64 v[140:141], v[130:131], s[46:47]
	v_fma_f64 v[154:155], v[124:125], s[36:37], v[10:11]
	v_fma_f64 v[156:157], v[124:125], s[36:37], -v[10:11]
	v_mul_f64 v[10:11], v[12:13], s[10:11]
	s_mov_b32 s47, 0x3fe58eea
	s_mov_b32 s46, s28
	v_add_f64 v[2:3], v[2:3], v[4:5]
	v_lshlrev_b32_e32 v4, 7, v99
	v_add3_u32 v4, v149, v4, v146
	v_add_f64 v[14:15], v[22:23], v[14:15]
	v_add_f64 v[138:139], v[6:7], v[138:139]
	v_mul_f64 v[6:7], v[130:131], s[16:17]
	v_mul_f64 v[130:131], v[130:131], s[44:45]
	v_fma_f64 v[158:159], v[124:125], s[24:25], v[140:141]
	v_fma_f64 v[140:141], v[124:125], s[24:25], -v[140:141]
	v_add_f64 v[10:11], v[10:11], v[44:45]
	v_mul_f64 v[44:45], v[0:1], s[36:37]
	v_add_f64 v[30:31], v[156:157], v[30:31]
	v_add_f64 v[18:19], v[138:139], v[18:19]
	v_fma_f64 v[150:151], v[124:125], s[12:13], v[6:7]
	v_fma_f64 v[152:153], v[124:125], s[12:13], -v[6:7]
	v_mul_f64 v[6:7], v[92:93], s[10:11]
	v_fma_f64 v[164:165], v[124:125], s[18:19], v[130:131]
	v_fma_f64 v[124:125], v[124:125], s[18:19], -v[130:131]
	v_add_f64 v[40:41], v[44:45], v[40:41]
	v_mul_f64 v[44:45], v[0:1], s[18:19]
	v_add_f64 v[34:35], v[140:141], v[34:35]
	v_mul_f64 v[138:139], v[114:115], s[40:41]
	v_mul_f64 v[140:141], v[114:115], s[48:49]
	v_add_f64 v[22:23], v[150:151], v[46:47]
	v_add_f64 v[26:27], v[152:153], v[26:27]
	;; [unrolled: 1-line block ×3, first 2 shown]
	v_mul_f64 v[6:7], v[92:93], s[12:13]
	v_mul_f64 v[134:135], v[112:113], s[26:27]
	v_add_f64 v[46:47], v[154:155], v[78:79]
	v_add_f64 v[36:37], v[44:45], v[36:37]
	v_mul_f64 v[44:45], v[112:113], s[42:43]
	v_add_f64 v[78:79], v[158:159], v[82:83]
	v_add_f64 v[82:83], v[160:161], v[86:87]
	;; [unrolled: 1-line block ×5, first 2 shown]
	v_mul_f64 v[124:125], v[114:115], s[44:45]
	v_mul_f64 v[136:137], v[114:115], s[38:39]
	v_fma_f64 v[152:153], v[88:89], s[24:25], v[138:139]
	v_fma_f64 v[138:139], v[88:89], s[24:25], -v[138:139]
	v_fma_f64 v[154:155], v[88:89], s[12:13], v[140:141]
	v_fma_f64 v[140:141], v[88:89], s[12:13], -v[140:141]
	v_add_f64 v[22:23], v[178:179], v[22:23]
	v_add_f64 v[26:27], v[168:169], v[26:27]
	;; [unrolled: 1-line block ×4, first 2 shown]
	v_mul_f64 v[6:7], v[88:89], s[4:5]
	v_fma_f64 v[174:175], v[92:93], s[4:5], v[134:135]
	v_fma_f64 v[134:135], v[92:93], s[4:5], -v[134:135]
	v_fma_f64 v[170:171], v[92:93], s[22:23], v[44:45]
	v_fma_f64 v[44:45], v[92:93], s[22:23], -v[44:45]
	v_mul_f64 v[130:131], v[24:25], s[46:47]
	v_fma_f64 v[144:145], v[88:89], s[18:19], v[124:125]
	v_fma_f64 v[124:125], v[88:89], s[18:19], -v[124:125]
	v_fma_f64 v[150:151], v[88:89], s[10:11], v[136:137]
	v_fma_f64 v[136:137], v[88:89], s[10:11], -v[136:137]
	v_add_f64 v[18:19], v[132:133], v[18:19]
	v_add_f64 v[128:129], v[6:7], v[128:129]
	v_mul_f64 v[6:7], v[88:89], s[36:37]
	v_add_f64 v[42:43], v[134:135], v[42:43]
	v_add_f64 v[46:47], v[170:171], v[46:47]
	;; [unrolled: 1-line block ×3, first 2 shown]
	v_fma_f64 v[162:163], v[20:21], s[6:7], v[130:131]
	v_fma_f64 v[130:131], v[20:21], s[6:7], -v[130:131]
	v_add_f64 v[14:15], v[128:129], v[14:15]
	v_add_f64 v[126:127], v[6:7], v[126:127]
	v_mul_f64 v[6:7], v[20:21], s[22:23]
	v_add_f64 v[42:43], v[140:141], v[42:43]
	v_add_f64 v[30:31], v[124:125], v[30:31]
	v_mul_f64 v[124:125], v[84:85], s[30:31]
	;; [unrolled: 3-line block ×3, first 2 shown]
	v_mul_f64 v[126:127], v[84:85], s[34:35]
	v_fma_f64 v[140:141], v[80:81], s[36:37], v[124:125]
	v_fma_f64 v[124:125], v[80:81], s[36:37], -v[124:125]
	v_add_f64 v[14:15], v[122:123], v[14:15]
	v_add_f64 v[120:121], v[6:7], v[120:121]
	v_mul_f64 v[6:7], v[80:81], s[12:13]
	v_add_f64 v[18:19], v[120:121], v[18:19]
	v_add_f64 v[118:119], v[6:7], v[118:119]
	v_mul_f64 v[6:7], v[80:81], s[22:23]
	;; [unrolled: 3-line block ×3, first 2 shown]
	v_add_f64 v[6:7], v[6:7], v[76:77]
	v_mul_f64 v[76:77], v[112:113], s[14:15]
	v_mul_f64 v[112:113], v[112:113], s[46:47]
	v_add_f64 v[6:7], v[6:7], v[14:15]
	v_fma_f64 v[172:173], v[92:93], s[18:19], v[76:77]
	v_fma_f64 v[76:77], v[92:93], s[18:19], -v[76:77]
	v_fma_f64 v[180:181], v[92:93], s[6:7], v[112:113]
	v_fma_f64 v[92:93], v[92:93], s[6:7], -v[112:113]
	v_mul_f64 v[112:113], v[114:115], s[42:43]
	v_mul_f64 v[114:115], v[114:115], s[46:47]
	s_mov_b32 s43, 0x3fefdd0d
	s_mov_b32 s42, s26
	v_add_f64 v[6:7], v[40:41], v[6:7]
	v_add_f64 v[38:39], v[76:77], v[38:39]
	;; [unrolled: 1-line block ×4, first 2 shown]
	v_fma_f64 v[142:143], v[88:89], s[22:23], v[112:113]
	v_fma_f64 v[112:113], v[88:89], s[22:23], -v[112:113]
	v_fma_f64 v[156:157], v[88:89], s[6:7], v[114:115]
	v_fma_f64 v[88:89], v[88:89], s[6:7], -v[114:115]
	v_add_f64 v[78:79], v[172:173], v[82:83]
	v_add_f64 v[76:77], v[174:175], v[86:87]
	;; [unrolled: 1-line block ×4, first 2 shown]
	v_mul_f64 v[90:91], v[24:25], s[38:39]
	v_mul_f64 v[92:93], v[24:25], s[30:31]
	;; [unrolled: 1-line block ×5, first 2 shown]
	v_add_f64 v[38:39], v[138:139], v[38:39]
	v_add_f64 v[44:45], v[150:151], v[44:45]
	;; [unrolled: 1-line block ×4, first 2 shown]
	v_fma_f64 v[142:143], v[80:81], s[10:11], v[126:127]
	v_fma_f64 v[126:127], v[80:81], s[10:11], -v[126:127]
	v_add_f64 v[76:77], v[154:155], v[76:77]
	v_fma_f64 v[132:133], v[20:21], s[10:11], v[90:91]
	v_fma_f64 v[90:91], v[20:21], s[10:11], -v[90:91]
	v_fma_f64 v[134:135], v[20:21], s[36:37], v[92:93]
	v_fma_f64 v[92:93], v[20:21], s[36:37], -v[92:93]
	;; [unrolled: 2-line block ×5, first 2 shown]
	v_add_f64 v[24:25], v[112:113], v[26:27]
	v_add_f64 v[26:27], v[144:145], v[46:47]
	;; [unrolled: 1-line block ×5, first 2 shown]
	v_mul_f64 v[86:87], v[84:85], s[14:15]
	v_mul_f64 v[88:89], v[84:85], s[40:41]
	;; [unrolled: 1-line block ×4, first 2 shown]
	v_add_f64 v[22:23], v[162:163], v[22:23]
	v_add_f64 v[30:31], v[90:91], v[30:31]
	;; [unrolled: 1-line block ×4, first 2 shown]
	v_mul_f64 v[90:91], v[16:17], s[30:31]
	v_add_f64 v[42:43], v[94:95], v[42:43]
	v_mul_f64 v[92:93], v[16:17], s[20:21]
	v_mul_f64 v[94:95], v[16:17], s[48:49]
	v_add_f64 v[20:21], v[20:21], v[38:39]
	v_add_f64 v[24:25], v[130:131], v[24:25]
	;; [unrolled: 1-line block ×6, first 2 shown]
	v_fma_f64 v[128:129], v[80:81], s[18:19], v[86:87]
	v_fma_f64 v[86:87], v[80:81], s[18:19], -v[86:87]
	v_fma_f64 v[136:137], v[80:81], s[24:25], v[88:89]
	v_fma_f64 v[88:89], v[80:81], s[24:25], -v[88:89]
	;; [unrolled: 2-line block ×4, first 2 shown]
	v_add_f64 v[78:79], v[114:115], v[82:83]
	v_mul_f64 v[82:83], v[16:17], s[26:27]
	v_mul_f64 v[84:85], v[16:17], s[14:15]
	;; [unrolled: 1-line block ×3, first 2 shown]
	v_fma_f64 v[122:123], v[12:13], s[36:37], v[90:91]
	v_fma_f64 v[90:91], v[12:13], s[36:37], -v[90:91]
	v_fma_f64 v[130:131], v[12:13], s[22:23], v[92:93]
	v_fma_f64 v[92:93], v[12:13], s[22:23], -v[92:93]
	;; [unrolled: 2-line block ×3, first 2 shown]
	v_add_f64 v[42:43], v[124:125], v[42:43]
	v_add_f64 v[38:39], v[140:141], v[38:39]
	;; [unrolled: 1-line block ×3, first 2 shown]
	v_mul_f64 v[112:113], v[8:9], s[46:47]
	v_add_f64 v[34:35], v[80:81], v[34:35]
	v_mul_f64 v[80:81], v[8:9], s[16:17]
	v_fma_f64 v[114:115], v[12:13], s[4:5], v[82:83]
	v_fma_f64 v[82:83], v[12:13], s[4:5], -v[82:83]
	v_fma_f64 v[120:121], v[12:13], s[18:19], v[84:85]
	v_fma_f64 v[84:85], v[12:13], s[18:19], -v[84:85]
	;; [unrolled: 2-line block ×3, first 2 shown]
	v_add_f64 v[16:17], v[116:117], v[18:19]
	v_add_f64 v[18:19], v[128:129], v[22:23]
	v_add_f64 v[22:23], v[86:87], v[24:25]
	v_add_f64 v[24:25], v[136:137], v[26:27]
	v_add_f64 v[26:27], v[88:89], v[30:31]
	v_add_f64 v[30:31], v[144:145], v[44:45]
	v_add_f64 v[44:45], v[138:139], v[46:47]
	v_add_f64 v[46:47], v[142:143], v[76:77]
	v_add_f64 v[76:77], v[126:127], v[78:79]
	v_mul_f64 v[78:79], v[8:9], s[40:41]
	v_mul_f64 v[86:87], v[8:9], s[34:35]
	v_mul_f64 v[88:89], v[8:9], s[20:21]
	v_mul_f64 v[8:9], v[8:9], s[42:43]
	v_fma_f64 v[128:129], v[0:1], s[6:7], v[112:113]
	v_fma_f64 v[112:113], v[0:1], s[6:7], -v[112:113]
	v_fma_f64 v[118:119], v[0:1], s[12:13], v[80:81]
	v_fma_f64 v[80:81], v[0:1], s[12:13], -v[80:81]
	v_add_f64 v[20:21], v[90:91], v[20:21]
	v_add_f64 v[34:35], v[84:85], v[34:35]
	;; [unrolled: 1-line block ×6, first 2 shown]
	v_fma_f64 v[116:117], v[0:1], s[24:25], v[78:79]
	v_fma_f64 v[78:79], v[0:1], s[24:25], -v[78:79]
	v_fma_f64 v[124:125], v[0:1], s[10:11], v[86:87]
	v_fma_f64 v[86:87], v[0:1], s[10:11], -v[86:87]
	;; [unrolled: 2-line block ×4, first 2 shown]
	v_add_f64 v[8:9], v[10:11], v[16:17]
	v_add_f64 v[10:11], v[114:115], v[18:19]
	;; [unrolled: 1-line block ×20, first 2 shown]
	ds_write2_b64 v4, v[8:9], v[10:11] offset0:2 offset1:3
	ds_write2_b64 v4, v[14:15], v[18:19] offset0:4 offset1:5
	;; [unrolled: 1-line block ×7, first 2 shown]
	ds_write2_b64 v4, v[2:3], v[6:7] offset1:1
	ds_write_b64 v4, v[32:33] offset:128
.LBB0_18:
	s_or_b32 exec_lo, exec_lo, s33
	v_add_nc_u32_e32 v0, 0x800, v147
	s_waitcnt lgkmcnt(0)
	s_barrier
	buffer_gl0_inv
	v_add_nc_u32_e32 v1, 0xc00, v147
	ds_read_b64 v[30:31], v148
	ds_read2_b64 v[4:7], v0 offset0:16 offset1:101
	v_add_nc_u32_e32 v0, 0x1800, v147
	v_add_nc_u32_e32 v2, 0x1c00, v147
	;; [unrolled: 1-line block ×4, first 2 shown]
	ds_read2_b64 v[8:11], v1 offset0:58 offset1:160
	ds_read2_b64 v[24:27], v0 offset0:48 offset1:133
	;; [unrolled: 1-line block ×6, first 2 shown]
                                        ; implicit-def: $vgpr34_vgpr35
                                        ; implicit-def: $vgpr36_vgpr37
                                        ; implicit-def: $vgpr38_vgpr39
	s_and_saveexec_b32 s1, s0
	s_cbranch_execz .LBB0_20
; %bb.19:
	ds_read_b64 v[28:29], v147 offset:2040
	ds_read_b64 v[32:33], v147 offset:4216
	;; [unrolled: 1-line block ×5, first 2 shown]
.LBB0_20:
	s_or_b32 exec_lo, exec_lo, s1
	v_and_b32_e32 v40, 0xff, v99
	v_add_nc_u16 v41, v99, 0x55
	v_add_nc_u16 v42, v99, 0xaa
	v_mov_b32_e32 v78, 6
	v_add_nc_u32_e32 v81, 0xff, v99
	v_mul_lo_u16 v40, 0xf1, v40
	v_and_b32_e32 v43, 0xff, v41
	v_and_b32_e32 v44, 0xff, v42
	v_mov_b32_e32 v84, 0xf0f1
	s_mov_b32 s10, 0x134454ff
	v_lshrrev_b16 v76, 12, v40
	v_mul_lo_u16 v40, 0xf1, v43
	v_mul_lo_u16 v43, 0xf1, v44
	s_mov_b32 s11, 0x3fee6f0e
	s_mov_b32 s13, 0xbfee6f0e
	v_mul_lo_u16 v44, v76, 17
	v_lshrrev_b16 v77, 12, v40
	v_lshrrev_b16 v79, 12, v43
	v_and_b32_e32 v76, 0xffff, v76
	s_mov_b32 s12, s10
	v_sub_nc_u16 v83, v99, v44
	v_mul_lo_u16 v40, v77, 17
	v_mul_lo_u16 v43, v79, 17
	v_and_b32_e32 v182, 0xffff, v79
	v_mad_u32_u24 v180, 0x2a8, v76, 0
	v_lshlrev_b32_sdwa v80, v78, v83 dst_sel:DWORD dst_unused:UNUSED_PAD src0_sel:DWORD src1_sel:BYTE_0
	v_sub_nc_u16 v95, v41, v40
	v_sub_nc_u16 v179, v42, v43
	v_and_b32_e32 v181, 0xffff, v77
	s_mov_b32 s6, 0x4755a5e
	s_clause 0x1
	global_load_dwordx4 v[40:43], v80, s[8:9] offset:16
	global_load_dwordx4 v[44:47], v80, s[8:9]
	v_lshlrev_b32_sdwa v82, v78, v95 dst_sel:DWORD dst_unused:UNUSED_PAD src0_sel:DWORD src1_sel:BYTE_0
	s_clause 0x1
	global_load_dwordx4 v[85:88], v80, s[8:9] offset:48
	global_load_dwordx4 v[89:92], v80, s[8:9] offset:32
	v_lshlrev_b32_sdwa v80, v78, v179 dst_sel:DWORD dst_unused:UNUSED_PAD src0_sel:DWORD src1_sel:BYTE_0
	s_mov_b32 s7, 0x3fe2cf23
	s_clause 0x7
	global_load_dwordx4 v[112:115], v82, s[8:9] offset:16
	global_load_dwordx4 v[116:119], v82, s[8:9]
	global_load_dwordx4 v[120:123], v82, s[8:9] offset:48
	global_load_dwordx4 v[124:127], v82, s[8:9] offset:32
	;; [unrolled: 1-line block ×3, first 2 shown]
	global_load_dwordx4 v[132:135], v80, s[8:9]
	global_load_dwordx4 v[136:139], v80, s[8:9] offset:32
	global_load_dwordx4 v[140:143], v80, s[8:9] offset:48
	v_mul_u32_u24_sdwa v82, v81, v84 dst_sel:DWORD dst_unused:UNUSED_PAD src0_sel:WORD_0 src1_sel:DWORD
	s_mov_b32 s15, 0xbfe2cf23
	s_mov_b32 s14, s6
	;; [unrolled: 1-line block ×4, first 2 shown]
	v_lshrrev_b32_e32 v80, 20, v82
	v_mov_b32_e32 v84, 3
	v_mul_lo_u16 v80, v80, 17
	v_sub_nc_u16 v82, v81, v80
	v_lshlrev_b32_sdwa v78, v78, v82 dst_sel:DWORD dst_unused:UNUSED_PAD src0_sel:DWORD src1_sel:WORD_0
	s_clause 0x3
	global_load_dwordx4 v[149:152], v78, s[8:9]
	global_load_dwordx4 v[153:156], v78, s[8:9] offset:16
	global_load_dwordx4 v[157:160], v78, s[8:9] offset:32
	;; [unrolled: 1-line block ×3, first 2 shown]
	s_waitcnt vmcnt(0) lgkmcnt(0)
	s_barrier
	buffer_gl0_inv
	v_mul_f64 v[78:79], v[10:11], v[42:43]
	v_mul_f64 v[76:77], v[4:5], v[46:47]
	;; [unrolled: 1-line block ×22, first 2 shown]
	v_fma_f64 v[78:79], v[54:55], v[40:41], -v[78:79]
	v_fma_f64 v[76:77], v[68:69], v[44:45], -v[76:77]
	v_mul_f64 v[142:143], v[62:63], v[142:143]
	v_fma_f64 v[72:73], v[72:73], v[89:90], -v[80:81]
	v_fma_f64 v[80:81], v[58:59], v[85:86], -v[93:94]
	;; [unrolled: 1-line block ×6, first 2 shown]
	v_mul_f64 v[138:139], v[56:57], v[138:139]
	v_fma_f64 v[58:59], v[66:67], v[128:129], -v[173:174]
	v_fma_f64 v[56:57], v[56:57], v[136:137], -v[175:176]
	;; [unrolled: 1-line block ×4, first 2 shown]
	v_fma_f64 v[74:75], v[4:5], v[44:45], v[46:47]
	v_fma_f64 v[4:5], v[14:15], v[85:86], v[87:88]
	;; [unrolled: 1-line block ×11, first 2 shown]
	v_add_f64 v[26:27], v[78:79], v[72:73]
	v_add_f64 v[40:41], v[76:77], v[80:81]
	v_add_f64 v[112:113], v[110:111], v[76:77]
	v_add_f64 v[22:23], v[54:55], v[64:65]
	v_add_f64 v[124:125], v[48:49], v[68:69]
	v_add_f64 v[18:19], v[68:69], v[70:71]
	v_fma_f64 v[12:13], v[12:13], v[136:137], v[138:139]
	v_mul_f64 v[93:94], v[32:33], v[151:152]
	v_add_f64 v[42:43], v[58:59], v[56:57]
	v_add_f64 v[126:127], v[50:51], v[60:61]
	;; [unrolled: 1-line block ×3, first 2 shown]
	v_mul_f64 v[89:90], v[34:35], v[163:164]
	v_add_f64 v[114:115], v[74:75], -v[4:5]
	v_mul_f64 v[91:92], v[104:105], v[163:164]
	v_add_f64 v[118:119], v[76:77], -v[78:79]
	v_add_f64 v[116:117], v[52:53], -v[10:11]
	;; [unrolled: 1-line block ×8, first 2 shown]
	v_fma_f64 v[26:27], v[26:27], -0.5, v[110:111]
	v_fma_f64 v[40:41], v[40:41], -0.5, v[110:111]
	v_add_f64 v[110:111], v[20:21], -v[14:15]
	v_fma_f64 v[22:23], v[22:23], -0.5, v[48:49]
	v_add_f64 v[112:113], v[112:113], v[78:79]
	v_fma_f64 v[18:19], v[18:19], -0.5, v[48:49]
	v_add_f64 v[48:49], v[16:17], -v[12:13]
	v_add_f64 v[124:125], v[124:125], v[54:55]
	v_fma_f64 v[42:43], v[42:43], -0.5, v[50:51]
	v_add_f64 v[136:137], v[54:55], -v[68:69]
	v_fma_f64 v[44:45], v[44:45], -0.5, v[50:51]
	v_add_f64 v[50:51], v[72:73], -v[80:81]
	v_add_f64 v[138:139], v[64:65], -v[70:71]
	;; [unrolled: 1-line block ×4, first 2 shown]
	v_add_f64 v[126:127], v[126:127], v[58:59]
	v_mul_f64 v[144:145], v[102:103], v[151:152]
	v_mul_f64 v[151:152], v[38:39], v[155:156]
	;; [unrolled: 1-line block ×5, first 2 shown]
	v_add_f64 v[155:156], v[58:59], -v[60:61]
	v_fma_f64 v[163:164], v[114:115], s[10:11], v[26:27]
	v_fma_f64 v[26:27], v[114:115], s[12:13], v[26:27]
	;; [unrolled: 1-line block ×9, first 2 shown]
	v_add_f64 v[159:160], v[56:57], -v[62:63]
	v_fma_f64 v[175:176], v[48:49], s[12:13], v[44:45]
	v_fma_f64 v[44:45], v[48:49], s[10:11], v[44:45]
	v_fma_f64 v[42:43], v[130:131], s[12:13], v[42:43]
	v_fma_f64 v[40:41], v[102:103], v[149:150], -v[93:94]
	v_add_f64 v[93:94], v[118:119], v[120:121]
	v_add_f64 v[102:103], v[132:133], v[134:135]
	;; [unrolled: 1-line block ×8, first 2 shown]
	v_fma_f64 v[132:133], v[116:117], s[6:7], v[163:164]
	v_fma_f64 v[26:27], v[116:117], s[14:15], v[26:27]
	;; [unrolled: 1-line block ×9, first 2 shown]
	v_add_f64 v[122:123], v[155:156], v[159:160]
	v_fma_f64 v[136:137], v[130:131], s[6:7], v[175:176]
	v_fma_f64 v[130:131], v[130:131], s[14:15], v[44:45]
	;; [unrolled: 1-line block ×4, first 2 shown]
	v_fma_f64 v[44:45], v[108:109], v[153:154], -v[151:152]
	v_fma_f64 v[38:39], v[38:39], v[153:154], v[46:47]
	v_fma_f64 v[46:47], v[106:107], v[157:158], -v[85:86]
	v_fma_f64 v[36:37], v[36:37], v[157:158], v[87:88]
	;; [unrolled: 2-line block ×3, first 2 shown]
	v_add_f64 v[32:33], v[112:113], v[80:81]
	v_add_f64 v[85:86], v[124:125], v[70:71]
	v_fma_f64 v[89:90], v[93:94], s[4:5], v[132:133]
	v_fma_f64 v[26:27], v[93:94], s[4:5], v[26:27]
	;; [unrolled: 1-line block ×8, first 2 shown]
	v_add_f64 v[87:88], v[126:127], v[62:63]
	v_fma_f64 v[106:107], v[120:121], s[4:5], v[128:129]
	v_fma_f64 v[108:109], v[122:123], s[4:5], v[136:137]
	v_fma_f64 v[110:111], v[122:123], s[4:5], v[130:131]
	v_fma_f64 v[112:113], v[120:121], s[4:5], v[138:139]
	v_lshlrev_b32_sdwa v50, v84, v83 dst_sel:DWORD dst_unused:UNUSED_PAD src0_sel:DWORD src1_sel:BYTE_0
	v_mad_u32_u24 v51, 0x2a8, v181, 0
	v_mad_u32_u24 v114, 0x2a8, v182, 0
	v_lshlrev_b32_sdwa v83, v84, v95 dst_sel:DWORD dst_unused:UNUSED_PAD src0_sel:DWORD src1_sel:BYTE_0
	v_lshlrev_b32_sdwa v95, v84, v179 dst_sel:DWORD dst_unused:UNUSED_PAD src0_sel:DWORD src1_sel:BYTE_0
	v_add3_u32 v50, v180, v50, v146
	v_add3_u32 v83, v51, v83, v146
	v_add3_u32 v51, v114, v95, v146
	ds_write2_b64 v50, v[32:33], v[89:90] offset1:17
	ds_write2_b64 v50, v[91:92], v[93:94] offset0:34 offset1:51
	ds_write_b64 v50, v[26:27] offset:544
	ds_write2_b64 v83, v[85:86], v[104:105] offset1:17
	ds_write2_b64 v83, v[102:103], v[18:19] offset0:34 offset1:51
	ds_write_b64 v83, v[22:23] offset:544
	;; [unrolled: 3-line block ×3, first 2 shown]
	s_and_saveexec_b32 s1, s0
	s_cbranch_execz .LBB0_22
; %bb.21:
	v_add_f64 v[22:23], v[44:45], v[46:47]
	v_add_f64 v[18:19], v[40:41], v[48:49]
	v_add_f64 v[32:33], v[42:43], -v[34:35]
	v_add_f64 v[85:86], v[100:101], v[40:41]
	v_add_f64 v[26:27], v[38:39], -v[36:37]
	v_add_f64 v[87:88], v[44:45], -v[40:41]
	;; [unrolled: 1-line block ×5, first 2 shown]
	v_lshlrev_b32_sdwa v84, v84, v82 dst_sel:DWORD dst_unused:UNUSED_PAD src0_sel:DWORD src1_sel:WORD_0
	v_add3_u32 v84, 0, v84, v146
	v_fma_f64 v[22:23], v[22:23], -0.5, v[100:101]
	v_fma_f64 v[18:19], v[18:19], -0.5, v[100:101]
	v_add_f64 v[85:86], v[85:86], v[44:45]
	v_add_f64 v[87:88], v[87:88], v[89:90]
	;; [unrolled: 1-line block ×3, first 2 shown]
	v_fma_f64 v[102:103], v[32:33], s[10:11], v[22:23]
	v_fma_f64 v[100:101], v[26:27], s[10:11], v[18:19]
	;; [unrolled: 1-line block ×4, first 2 shown]
	v_add_f64 v[85:86], v[85:86], v[46:47]
	v_fma_f64 v[93:94], v[26:27], s[6:7], v[102:103]
	v_fma_f64 v[91:92], v[32:33], s[14:15], v[100:101]
	;; [unrolled: 1-line block ×4, first 2 shown]
	v_add_f64 v[26:27], v[85:86], v[48:49]
	v_fma_f64 v[85:86], v[89:90], s[4:5], v[93:94]
	v_fma_f64 v[32:33], v[87:88], s[4:5], v[91:92]
	;; [unrolled: 1-line block ×4, first 2 shown]
	v_add_nc_u32_e32 v87, 0x2400, v84
	v_add_nc_u32_e32 v88, 0x2800, v84
	ds_write2_b64 v87, v[26:27], v[85:86] offset0:123 offset1:140
	ds_write2_b64 v88, v[18:19], v[32:33] offset0:29 offset1:46
	ds_write_b64 v84, v[22:23] offset:10744
.LBB0_22:
	s_or_b32 exec_lo, exec_lo, s1
	v_add_f64 v[18:19], v[52:53], v[10:11]
	v_add_f64 v[22:23], v[74:75], v[4:5]
	;; [unrolled: 1-line block ×7, first 2 shown]
	v_add_f64 v[76:77], v[76:77], -v[80:81]
	v_add_f64 v[92:93], v[2:3], v[24:25]
	v_add_f64 v[72:73], v[78:79], -v[72:73]
	v_add_f64 v[90:91], v[0:1], v[66:67]
	v_add_f64 v[54:55], v[54:55], -v[64:65]
	v_add_f64 v[56:57], v[58:59], -v[56:57]
	;; [unrolled: 1-line block ×9, first 2 shown]
	s_waitcnt lgkmcnt(0)
	s_barrier
	v_fma_f64 v[18:19], v[18:19], -0.5, v[30:31]
	v_fma_f64 v[22:23], v[22:23], -0.5, v[30:31]
	v_add_f64 v[30:31], v[68:69], -v[70:71]
	v_fma_f64 v[26:27], v[26:27], -0.5, v[0:1]
	v_fma_f64 v[0:1], v[32:33], -0.5, v[0:1]
	v_add_f64 v[32:33], v[60:61], -v[62:63]
	;; [unrolled: 3-line block ×3, first 2 shown]
	v_add_f64 v[24:25], v[16:17], -v[24:25]
	v_add_f64 v[52:53], v[88:89], v[52:53]
	v_add_f64 v[16:17], v[92:93], v[16:17]
	v_add_f64 v[62:63], v[6:7], -v[14:15]
	v_add_f64 v[70:71], v[8:9], -v[12:13]
	v_add_f64 v[84:85], v[12:13], -v[8:9]
	v_add_f64 v[20:21], v[90:91], v[20:21]
	v_add_f64 v[78:79], v[78:79], v[80:81]
	;; [unrolled: 1-line block ×3, first 2 shown]
	buffer_gl0_inv
	v_fma_f64 v[86:87], v[76:77], s[12:13], v[18:19]
	v_fma_f64 v[18:19], v[76:77], s[10:11], v[18:19]
	;; [unrolled: 1-line block ×12, first 2 shown]
	v_add_f64 v[10:11], v[52:53], v[10:11]
	v_add_f64 v[12:13], v[16:17], v[12:13]
	;; [unrolled: 1-line block ×7, first 2 shown]
	v_add_nc_u32_e32 v84, 0x400, v147
	v_fma_f64 v[16:17], v[72:73], s[14:15], v[86:87]
	v_fma_f64 v[18:19], v[72:73], s[6:7], v[18:19]
	;; [unrolled: 1-line block ×12, first 2 shown]
	v_add_f64 v[68:69], v[10:11], v[4:5]
	v_add_nc_u32_e32 v4, 0x800, v147
	v_add_nc_u32_e32 v5, 0x1000, v147
	ds_read2_b64 v[0:3], v147 offset0:85 offset1:170
	v_add_f64 v[72:73], v[12:13], v[8:9]
	v_add_f64 v[70:71], v[14:15], v[6:7]
	ds_read2_b64 v[12:15], v84 offset0:127 offset1:212
	ds_read2_b64 v[8:11], v4 offset0:169 offset1:254
	ds_read2_b64 v[4:7], v5 offset0:83 offset1:168
	v_fma_f64 v[76:77], v[78:79], s[4:5], v[16:17]
	v_add_nc_u32_e32 v16, 0x1400, v147
	v_add_nc_u32_e32 v17, 0x1800, v147
	v_fma_f64 v[78:79], v[78:79], s[4:5], v[18:19]
	v_add_nc_u32_e32 v18, 0x2000, v147
	v_fma_f64 v[80:81], v[74:75], s[4:5], v[20:21]
	v_fma_f64 v[74:75], v[74:75], s[4:5], v[22:23]
	;; [unrolled: 1-line block ×10, first 2 shown]
	ds_read2_b64 v[24:27], v16 offset0:125 offset1:210
	ds_read2_b64 v[20:23], v17 offset0:167 offset1:252
	ds_read_b64 v[30:31], v148
	ds_read_b64 v[32:33], v147 offset:10200
	ds_read2_b64 v[16:19], v18 offset0:81 offset1:166
	s_waitcnt lgkmcnt(0)
	s_barrier
	buffer_gl0_inv
	ds_write2_b64 v50, v[68:69], v[76:77] offset1:17
	ds_write2_b64 v50, v[80:81], v[74:75] offset0:34 offset1:51
	ds_write_b64 v50, v[78:79] offset:544
	ds_write2_b64 v83, v[70:71], v[52:53] offset1:17
	ds_write2_b64 v83, v[54:55], v[62:63] offset0:34 offset1:51
	ds_write_b64 v83, v[58:59] offset:544
	;; [unrolled: 3-line block ×3, first 2 shown]
	s_and_saveexec_b32 s1, s0
	s_cbranch_execz .LBB0_24
; %bb.23:
	v_add_f64 v[50:51], v[38:39], v[36:37]
	v_add_f64 v[52:53], v[42:43], v[34:35]
	v_add_f64 v[54:55], v[28:29], v[42:43]
	v_add_f64 v[40:41], v[40:41], -v[48:49]
	v_add_f64 v[44:45], v[44:45], -v[46:47]
	s_mov_b32 s4, 0x134454ff
	s_mov_b32 s5, 0xbfee6f0e
	;; [unrolled: 1-line block ×4, first 2 shown]
	v_add_f64 v[46:47], v[42:43], -v[38:39]
	v_add_f64 v[42:43], v[38:39], -v[42:43]
	v_fma_f64 v[48:49], v[50:51], -0.5, v[28:29]
	v_fma_f64 v[28:29], v[52:53], -0.5, v[28:29]
	v_add_f64 v[50:51], v[34:35], -v[36:37]
	v_add_f64 v[38:39], v[54:55], v[38:39]
	v_add_f64 v[52:53], v[36:37], -v[34:35]
	v_fma_f64 v[54:55], v[40:41], s[4:5], v[48:49]
	v_fma_f64 v[48:49], v[40:41], s[6:7], v[48:49]
	;; [unrolled: 1-line block ×4, first 2 shown]
	s_mov_b32 s4, 0x4755a5e
	s_mov_b32 s5, 0xbfe2cf23
	;; [unrolled: 1-line block ×4, first 2 shown]
	v_add_f64 v[46:47], v[46:47], v[50:51]
	v_add_f64 v[36:37], v[38:39], v[36:37]
	;; [unrolled: 1-line block ×3, first 2 shown]
	v_fma_f64 v[38:39], v[44:45], s[4:5], v[54:55]
	v_fma_f64 v[44:45], v[44:45], s[6:7], v[48:49]
	;; [unrolled: 1-line block ×4, first 2 shown]
	s_mov_b32 s4, 0x372fe950
	s_mov_b32 s5, 0x3fd3c6ef
	v_add_f64 v[34:35], v[36:37], v[34:35]
	v_fma_f64 v[36:37], v[46:47], s[4:5], v[38:39]
	v_fma_f64 v[38:39], v[46:47], s[4:5], v[44:45]
	;; [unrolled: 1-line block ×4, first 2 shown]
	v_mov_b32_e32 v42, 3
	v_lshlrev_b32_sdwa v42, v42, v82 dst_sel:DWORD dst_unused:UNUSED_PAD src0_sel:DWORD src1_sel:WORD_0
	v_add3_u32 v42, 0, v42, v146
	v_add_nc_u32_e32 v43, 0x2400, v42
	v_add_nc_u32_e32 v44, 0x2800, v42
	ds_write2_b64 v43, v[34:35], v[36:37] offset0:123 offset1:140
	ds_write2_b64 v44, v[40:41], v[28:29] offset0:29 offset1:46
	ds_write_b64 v42, v[38:39] offset:10744
.LBB0_24:
	s_or_b32 exec_lo, exec_lo, s1
	s_waitcnt lgkmcnt(0)
	s_barrier
	buffer_gl0_inv
	s_and_saveexec_b32 s0, vcc_lo
	s_cbranch_execz .LBB0_26
; %bb.25:
	v_mul_u32_u24_e32 v28, 15, v99
	v_add_nc_u32_e32 v29, 0x400, v147
	v_add_nc_u32_e32 v94, 0x1800, v147
	;; [unrolled: 1-line block ×4, first 2 shown]
	v_lshlrev_b32_e32 v28, 4, v28
	s_mov_b32 s4, 0x667f3bcd
	s_mov_b32 s5, 0x3fe6a09e
	;; [unrolled: 1-line block ×4, first 2 shown]
	s_clause 0xe
	global_load_dwordx4 v[34:37], v28, s[8:9] offset:1104
	global_load_dwordx4 v[38:41], v28, s[8:9] offset:1232
	;; [unrolled: 1-line block ×15, first 2 shown]
	v_add_nc_u32_e32 v28, 0x1400, v147
	ds_read2_b64 v[99:102], v147 offset0:85 offset1:170
	s_mov_b32 s10, 0xcf328d46
	s_mov_b32 s11, 0x3fed906b
	;; [unrolled: 1-line block ×3, first 2 shown]
	ds_read2_b64 v[103:106], v28 offset0:125 offset1:210
	v_add_nc_u32_e32 v28, 0x800, v147
	ds_read2_b64 v[107:110], v29 offset0:127 offset1:212
	ds_read2_b64 v[111:114], v94 offset0:167 offset1:252
	;; [unrolled: 1-line block ×4, first 2 shown]
	ds_read_b64 v[28:29], v148
	ds_read_b64 v[94:95], v147 offset:10200
	ds_read2_b64 v[123:126], v123 offset0:83 offset1:168
	s_mov_b32 s1, 0x3fd87de2
	s_mov_b32 s9, 0xbfd87de2
	;; [unrolled: 1-line block ×5, first 2 shown]
	s_waitcnt vmcnt(14) lgkmcnt(8)
	v_mul_f64 v[127:128], v[101:102], v[36:37]
	s_waitcnt vmcnt(13) lgkmcnt(7)
	v_mul_f64 v[129:130], v[105:106], v[40:41]
	s_waitcnt vmcnt(12)
	v_mul_f64 v[131:132], v[10:11], v[44:45]
	s_waitcnt vmcnt(11)
	;; [unrolled: 2-line block ×3, first 2 shown]
	v_mul_f64 v[135:136], v[6:7], v[52:53]
	s_waitcnt vmcnt(9) lgkmcnt(6)
	v_mul_f64 v[137:138], v[109:110], v[56:57]
	s_waitcnt vmcnt(8) lgkmcnt(5)
	v_mul_f64 v[139:140], v[113:114], v[60:61]
	v_mul_f64 v[36:37], v[2:3], v[36:37]
	;; [unrolled: 1-line block ×3, first 2 shown]
	s_waitcnt lgkmcnt(4)
	v_mul_f64 v[44:45], v[117:118], v[44:45]
	s_waitcnt lgkmcnt(3)
	v_mul_f64 v[48:49], v[121:122], v[48:49]
	s_waitcnt vmcnt(7)
	v_mul_f64 v[141:142], v[99:100], v[64:65]
	s_waitcnt vmcnt(6)
	;; [unrolled: 2-line block ×8, first 2 shown]
	v_mul_f64 v[155:156], v[32:33], v[92:93]
	v_mul_f64 v[80:81], v[12:13], v[80:81]
	;; [unrolled: 1-line block ×3, first 2 shown]
	s_waitcnt lgkmcnt(0)
	v_mul_f64 v[88:89], v[123:124], v[88:89]
	v_mul_f64 v[92:93], v[94:95], v[92:93]
	;; [unrolled: 1-line block ×9, first 2 shown]
	v_fma_f64 v[2:3], v[2:3], v[34:35], -v[127:128]
	v_fma_f64 v[26:27], v[26:27], v[38:39], -v[129:130]
	v_fma_f64 v[117:118], v[117:118], v[42:43], v[131:132]
	v_fma_f64 v[121:122], v[121:122], v[46:47], v[133:134]
	;; [unrolled: 1-line block ×3, first 2 shown]
	v_fma_f64 v[14:15], v[14:15], v[54:55], -v[137:138]
	v_fma_f64 v[22:23], v[22:23], v[58:59], -v[139:140]
	v_fma_f64 v[34:35], v[34:35], v[101:102], v[36:37]
	v_fma_f64 v[36:37], v[38:39], v[105:106], v[40:41]
	v_fma_f64 v[10:11], v[10:11], v[42:43], -v[44:45]
	v_fma_f64 v[18:19], v[18:19], v[46:47], -v[48:49]
	;; [unrolled: 1-line block ×4, first 2 shown]
	v_fma_f64 v[38:39], v[115:116], v[70:71], v[145:146]
	v_fma_f64 v[40:41], v[119:120], v[74:75], v[147:148]
	v_fma_f64 v[12:13], v[12:13], v[78:79], -v[149:150]
	v_fma_f64 v[20:21], v[20:21], v[82:83], -v[151:152]
	v_fma_f64 v[42:43], v[123:124], v[86:87], v[153:154]
	v_fma_f64 v[44:45], v[94:95], v[90:91], v[155:156]
	;; [unrolled: 1-line block ×4, first 2 shown]
	v_fma_f64 v[4:5], v[4:5], v[86:87], -v[88:89]
	v_fma_f64 v[32:33], v[32:33], v[90:91], -v[92:93]
	v_fma_f64 v[62:63], v[62:63], v[99:100], v[64:65]
	v_fma_f64 v[64:65], v[66:67], v[103:104], v[68:69]
	v_fma_f64 v[8:9], v[8:9], v[70:71], -v[72:73]
	v_fma_f64 v[16:17], v[16:17], v[74:75], -v[76:77]
	;; [unrolled: 1-line block ×3, first 2 shown]
	v_fma_f64 v[50:51], v[54:55], v[109:110], v[56:57]
	v_fma_f64 v[52:53], v[58:59], v[113:114], v[60:61]
	v_add_f64 v[26:27], v[2:3], -v[26:27]
	v_add_f64 v[54:55], v[117:118], -v[121:122]
	;; [unrolled: 1-line block ×9, first 2 shown]
	v_mov_b32_e32 v99, 0
	v_add_f64 v[44:45], v[42:43], -v[44:45]
	v_add_f64 v[48:49], v[46:47], -v[48:49]
	v_add_f64 v[32:33], v[4:5], -v[32:33]
	v_add_f64 v[58:59], v[62:63], -v[64:65]
	v_add_f64 v[16:17], v[8:9], -v[16:17]
	v_add_f64 v[6:7], v[30:31], -v[6:7]
	v_add_f64 v[52:53], v[50:51], -v[52:53]
	v_fma_f64 v[2:3], v[2:3], 2.0, -v[26:27]
	v_add_f64 v[60:61], v[26:27], -v[54:55]
	v_fma_f64 v[28:29], v[28:29], 2.0, -v[56:57]
	v_add_f64 v[64:65], v[56:57], v[22:23]
	v_fma_f64 v[34:35], v[34:35], 2.0, -v[36:37]
	v_add_f64 v[66:67], v[36:37], v[18:19]
	v_fma_f64 v[10:11], v[10:11], 2.0, -v[18:19]
	v_add_f64 v[68:69], v[24:25], -v[40:41]
	v_fma_f64 v[0:1], v[0:1], 2.0, -v[24:25]
	v_fma_f64 v[12:13], v[12:13], 2.0, -v[20:21]
	v_add_f64 v[70:71], v[20:21], -v[44:45]
	v_fma_f64 v[18:19], v[42:43], 2.0, -v[44:45]
	v_fma_f64 v[42:43], v[117:118], 2.0, -v[54:55]
	;; [unrolled: 1-line block ×3, first 2 shown]
	v_add_f64 v[72:73], v[48:49], v[32:33]
	v_fma_f64 v[4:5], v[4:5], 2.0, -v[32:33]
	v_fma_f64 v[22:23], v[62:63], 2.0, -v[58:59]
	;; [unrolled: 1-line block ×3, first 2 shown]
	v_add_f64 v[74:75], v[58:59], v[16:17]
	v_fma_f64 v[8:9], v[8:9], 2.0, -v[16:17]
	v_fma_f64 v[16:17], v[46:47], 2.0, -v[48:49]
	v_add_f64 v[76:77], v[6:7], -v[52:53]
	v_fma_f64 v[50:51], v[50:51], 2.0, -v[52:53]
	v_fma_f64 v[30:31], v[30:31], 2.0, -v[6:7]
	;; [unrolled: 1-line block ×4, first 2 shown]
	v_lshlrev_b64 v[46:47], 4, v[96:97]
	v_fma_f64 v[36:37], v[36:37], 2.0, -v[66:67]
	v_add_f64 v[10:11], v[2:3], -v[10:11]
	v_fma_f64 v[24:25], v[24:25], 2.0, -v[68:69]
	v_fma_f64 v[20:21], v[20:21], 2.0, -v[70:71]
	v_fma_f64 v[52:53], v[70:71], s[4:5], v[68:69]
	v_add_f64 v[42:43], v[34:35], -v[42:43]
	v_add_co_u32 v84, vcc_lo, s2, v46
	v_fma_f64 v[40:41], v[48:49], 2.0, -v[72:73]
	v_fma_f64 v[48:49], v[66:67], s[4:5], v[64:65]
	v_add_f64 v[4:5], v[12:13], -v[4:5]
	v_fma_f64 v[44:45], v[58:59], 2.0, -v[74:75]
	v_fma_f64 v[54:55], v[72:73], s[4:5], v[74:75]
	v_add_f64 v[8:9], v[0:1], -v[8:9]
	v_fma_f64 v[6:7], v[6:7], 2.0, -v[76:77]
	v_add_f64 v[50:51], v[28:29], -v[50:51]
	v_add_f64 v[14:15], v[30:31], -v[14:15]
	;; [unrolled: 1-line block ×4, first 2 shown]
	v_fma_f64 v[56:57], v[60:61], s[4:5], v[76:77]
	v_fma_f64 v[62:63], v[36:37], s[6:7], v[38:39]
	v_add_co_ci_u32_e32 v85, vcc_lo, s3, v47, vcc_lo
	v_fma_f64 v[2:3], v[2:3], 2.0, -v[10:11]
	v_lshlrev_b64 v[58:59], 4, v[98:99]
	v_fma_f64 v[78:79], v[20:21], s[6:7], v[24:25]
	v_fma_f64 v[34:35], v[34:35], 2.0, -v[42:43]
	v_fma_f64 v[46:47], v[60:61], s[4:5], v[48:49]
	v_fma_f64 v[48:49], v[72:73], s[6:7], v[52:53]
	;; [unrolled: 1-line block ×4, first 2 shown]
	v_fma_f64 v[0:1], v[0:1], 2.0, -v[8:9]
	v_fma_f64 v[82:83], v[26:27], s[6:7], v[6:7]
	v_fma_f64 v[28:29], v[28:29], 2.0, -v[50:51]
	v_fma_f64 v[12:13], v[12:13], 2.0, -v[4:5]
	;; [unrolled: 1-line block ×5, first 2 shown]
	v_fma_f64 v[54:55], v[66:67], s[6:7], v[56:57]
	v_add_f64 v[56:57], v[10:11], v[50:51]
	v_add_f64 v[10:11], v[8:9], -v[18:19]
	v_add_f64 v[4:5], v[32:33], v[4:5]
	v_add_f64 v[60:61], v[14:15], -v[42:43]
	v_fma_f64 v[62:63], v[26:27], s[4:5], v[62:63]
	v_fma_f64 v[18:19], v[40:41], s[6:7], v[78:79]
	v_add_co_u32 v70, vcc_lo, v84, v58
	v_add_co_ci_u32_e32 v71, vcc_lo, v85, v59, vcc_lo
	v_fma_f64 v[58:59], v[64:65], 2.0, -v[46:47]
	v_fma_f64 v[26:27], v[68:69], 2.0, -v[48:49]
	v_fma_f64 v[20:21], v[20:21], s[4:5], v[80:81]
	v_add_co_u32 v72, vcc_lo, 0x800, v70
	v_fma_f64 v[66:67], v[36:37], s[6:7], v[82:83]
	v_add_f64 v[36:37], v[28:29], -v[34:35]
	v_add_f64 v[12:13], v[0:1], -v[12:13]
	;; [unrolled: 1-line block ×3, first 2 shown]
	v_fma_f64 v[34:35], v[74:75], 2.0, -v[52:53]
	v_add_f64 v[16:17], v[22:23], -v[16:17]
	v_fma_f64 v[64:65], v[76:77], 2.0, -v[54:55]
	v_fma_f64 v[68:69], v[50:51], 2.0, -v[56:57]
	;; [unrolled: 1-line block ×7, first 2 shown]
	v_fma_f64 v[8:9], v[4:5], s[4:5], v[56:57]
	v_fma_f64 v[14:15], v[10:11], s[4:5], v[60:61]
	v_fma_f64 v[2:3], v[52:53], s[10:11], v[46:47]
	v_add_co_ci_u32_e32 v73, vcc_lo, 0, v71, vcc_lo
	v_add_co_u32 v80, vcc_lo, 0x1000, v70
	v_fma_f64 v[44:45], v[44:45], 2.0, -v[20:21]
	v_fma_f64 v[24:25], v[20:21], s[0:1], v[62:63]
	v_fma_f64 v[78:79], v[6:7], 2.0, -v[66:67]
	v_fma_f64 v[6:7], v[48:49], s[10:11], v[54:55]
	v_fma_f64 v[92:93], v[28:29], 2.0, -v[36:37]
	v_fma_f64 v[94:95], v[30:31], 2.0, -v[40:41]
	v_fma_f64 v[84:85], v[34:35], s[8:9], v[58:59]
	v_fma_f64 v[28:29], v[22:23], 2.0, -v[16:17]
	v_fma_f64 v[30:31], v[0:1], 2.0, -v[12:13]
	v_fma_f64 v[50:51], v[18:19], s[0:1], v[66:67]
	v_fma_f64 v[86:87], v[26:27], s[8:9], v[64:65]
	;; [unrolled: 1-line block ×4, first 2 shown]
	v_add_co_ci_u32_e32 v81, vcc_lo, 0, v71, vcc_lo
	v_add_co_u32 v82, vcc_lo, 0x1800, v70
	v_fma_f64 v[4:5], v[4:5], s[6:7], v[14:15]
	v_fma_f64 v[2:3], v[48:49], s[0:1], v[2:3]
	v_add_co_ci_u32_e32 v83, vcc_lo, 0, v71, vcc_lo
	v_add_co_u32 v100, vcc_lo, 0x2000, v70
	v_fma_f64 v[96:97], v[44:45], s[12:13], v[76:77]
	v_fma_f64 v[98:99], v[38:39], s[12:13], v[78:79]
	;; [unrolled: 1-line block ×4, first 2 shown]
	v_add_f64 v[10:11], v[36:37], v[12:13]
	v_add_f64 v[8:9], v[40:41], -v[16:17]
	v_fma_f64 v[14:15], v[18:19], s[10:11], v[24:25]
	v_fma_f64 v[18:19], v[26:27], s[10:11], v[84:85]
	v_add_f64 v[26:27], v[92:93], -v[28:29]
	v_add_f64 v[24:25], v[94:95], -v[30:31]
	v_fma_f64 v[12:13], v[20:21], s[12:13], v[50:51]
	v_fma_f64 v[22:23], v[42:43], s[4:5], v[88:89]
	v_fma_f64 v[20:21], v[32:33], s[6:7], v[90:91]
	v_fma_f64 v[16:17], v[34:35], s[12:13], v[86:87]
	v_add_co_ci_u32_e32 v101, vcc_lo, 0, v71, vcc_lo
	v_add_co_u32 v102, vcc_lo, 0x2800, v70
	v_fma_f64 v[34:35], v[46:47], 2.0, -v[2:3]
	v_add_co_ci_u32_e32 v103, vcc_lo, 0, v71, vcc_lo
	v_add_co_u32 v84, vcc_lo, 0x3000, v70
	v_fma_f64 v[30:31], v[38:39], s[0:1], v[96:97]
	v_fma_f64 v[28:29], v[44:45], s[8:9], v[98:99]
	v_fma_f64 v[38:39], v[56:57], 2.0, -v[6:7]
	v_fma_f64 v[42:43], v[36:37], 2.0, -v[10:11]
	;; [unrolled: 1-line block ×11, first 2 shown]
	v_add_co_ci_u32_e32 v85, vcc_lo, 0, v71, vcc_lo
	v_fma_f64 v[46:47], v[62:63], 2.0, -v[14:15]
	v_fma_f64 v[44:45], v[66:67], 2.0, -v[12:13]
	v_add_co_u32 v86, vcc_lo, 0x3800, v70
	v_add_co_ci_u32_e32 v87, vcc_lo, 0, v71, vcc_lo
	v_add_co_u32 v64, vcc_lo, 0x4800, v70
	v_fma_f64 v[62:63], v[76:77], 2.0, -v[30:31]
	v_fma_f64 v[60:61], v[78:79], 2.0, -v[28:29]
	v_add_co_ci_u32_e32 v65, vcc_lo, 0, v71, vcc_lo
	v_add_co_u32 v66, vcc_lo, 0x4000, v70
	v_add_co_ci_u32_e32 v67, vcc_lo, 0, v71, vcc_lo
	global_store_dwordx4 v[86:87], v[8:11], off offset:1984
	global_store_dwordx4 v[64:65], v[4:7], off offset:608
	;; [unrolled: 1-line block ×9, first 2 shown]
	global_store_dwordx4 v[70:71], v[56:59], off
	global_store_dwordx4 v[72:73], v[52:55], off offset:672
	global_store_dwordx4 v[72:73], v[48:51], off offset:2032
	;; [unrolled: 1-line block ×6, first 2 shown]
.LBB0_26:
	s_endpgm
	.section	.rodata,"a",@progbits
	.p2align	6, 0x0
	.amdhsa_kernel fft_rtc_fwd_len1360_factors_17_5_16_wgs_255_tpt_85_halfLds_dp_ip_CI_unitstride_sbrr_dirReg
		.amdhsa_group_segment_fixed_size 0
		.amdhsa_private_segment_fixed_size 0
		.amdhsa_kernarg_size 88
		.amdhsa_user_sgpr_count 6
		.amdhsa_user_sgpr_private_segment_buffer 1
		.amdhsa_user_sgpr_dispatch_ptr 0
		.amdhsa_user_sgpr_queue_ptr 0
		.amdhsa_user_sgpr_kernarg_segment_ptr 1
		.amdhsa_user_sgpr_dispatch_id 0
		.amdhsa_user_sgpr_flat_scratch_init 0
		.amdhsa_user_sgpr_private_segment_size 0
		.amdhsa_wavefront_size32 1
		.amdhsa_uses_dynamic_stack 0
		.amdhsa_system_sgpr_private_segment_wavefront_offset 0
		.amdhsa_system_sgpr_workgroup_id_x 1
		.amdhsa_system_sgpr_workgroup_id_y 0
		.amdhsa_system_sgpr_workgroup_id_z 0
		.amdhsa_system_sgpr_workgroup_info 0
		.amdhsa_system_vgpr_workitem_id 0
		.amdhsa_next_free_vgpr 255
		.amdhsa_next_free_sgpr 54
		.amdhsa_reserve_vcc 1
		.amdhsa_reserve_flat_scratch 0
		.amdhsa_float_round_mode_32 0
		.amdhsa_float_round_mode_16_64 0
		.amdhsa_float_denorm_mode_32 3
		.amdhsa_float_denorm_mode_16_64 3
		.amdhsa_dx10_clamp 1
		.amdhsa_ieee_mode 1
		.amdhsa_fp16_overflow 0
		.amdhsa_workgroup_processor_mode 1
		.amdhsa_memory_ordered 1
		.amdhsa_forward_progress 0
		.amdhsa_shared_vgpr_count 0
		.amdhsa_exception_fp_ieee_invalid_op 0
		.amdhsa_exception_fp_denorm_src 0
		.amdhsa_exception_fp_ieee_div_zero 0
		.amdhsa_exception_fp_ieee_overflow 0
		.amdhsa_exception_fp_ieee_underflow 0
		.amdhsa_exception_fp_ieee_inexact 0
		.amdhsa_exception_int_div_zero 0
	.end_amdhsa_kernel
	.text
.Lfunc_end0:
	.size	fft_rtc_fwd_len1360_factors_17_5_16_wgs_255_tpt_85_halfLds_dp_ip_CI_unitstride_sbrr_dirReg, .Lfunc_end0-fft_rtc_fwd_len1360_factors_17_5_16_wgs_255_tpt_85_halfLds_dp_ip_CI_unitstride_sbrr_dirReg
                                        ; -- End function
	.section	.AMDGPU.csdata,"",@progbits
; Kernel info:
; codeLenInByte = 14672
; NumSgprs: 56
; NumVgprs: 255
; ScratchSize: 0
; MemoryBound: 1
; FloatMode: 240
; IeeeMode: 1
; LDSByteSize: 0 bytes/workgroup (compile time only)
; SGPRBlocks: 6
; VGPRBlocks: 31
; NumSGPRsForWavesPerEU: 56
; NumVGPRsForWavesPerEU: 255
; Occupancy: 4
; WaveLimiterHint : 1
; COMPUTE_PGM_RSRC2:SCRATCH_EN: 0
; COMPUTE_PGM_RSRC2:USER_SGPR: 6
; COMPUTE_PGM_RSRC2:TRAP_HANDLER: 0
; COMPUTE_PGM_RSRC2:TGID_X_EN: 1
; COMPUTE_PGM_RSRC2:TGID_Y_EN: 0
; COMPUTE_PGM_RSRC2:TGID_Z_EN: 0
; COMPUTE_PGM_RSRC2:TIDIG_COMP_CNT: 0
	.text
	.p2alignl 6, 3214868480
	.fill 48, 4, 3214868480
	.type	__hip_cuid_22e5c3c813e5b713,@object ; @__hip_cuid_22e5c3c813e5b713
	.section	.bss,"aw",@nobits
	.globl	__hip_cuid_22e5c3c813e5b713
__hip_cuid_22e5c3c813e5b713:
	.byte	0                               ; 0x0
	.size	__hip_cuid_22e5c3c813e5b713, 1

	.ident	"AMD clang version 19.0.0git (https://github.com/RadeonOpenCompute/llvm-project roc-6.4.0 25133 c7fe45cf4b819c5991fe208aaa96edf142730f1d)"
	.section	".note.GNU-stack","",@progbits
	.addrsig
	.addrsig_sym __hip_cuid_22e5c3c813e5b713
	.amdgpu_metadata
---
amdhsa.kernels:
  - .args:
      - .actual_access:  read_only
        .address_space:  global
        .offset:         0
        .size:           8
        .value_kind:     global_buffer
      - .offset:         8
        .size:           8
        .value_kind:     by_value
      - .actual_access:  read_only
        .address_space:  global
        .offset:         16
        .size:           8
        .value_kind:     global_buffer
      - .actual_access:  read_only
        .address_space:  global
        .offset:         24
        .size:           8
        .value_kind:     global_buffer
      - .offset:         32
        .size:           8
        .value_kind:     by_value
      - .actual_access:  read_only
        .address_space:  global
        .offset:         40
        .size:           8
        .value_kind:     global_buffer
      - .actual_access:  read_only
        .address_space:  global
        .offset:         48
        .size:           8
        .value_kind:     global_buffer
      - .offset:         56
        .size:           4
        .value_kind:     by_value
      - .actual_access:  read_only
        .address_space:  global
        .offset:         64
        .size:           8
        .value_kind:     global_buffer
      - .actual_access:  read_only
        .address_space:  global
        .offset:         72
        .size:           8
        .value_kind:     global_buffer
      - .address_space:  global
        .offset:         80
        .size:           8
        .value_kind:     global_buffer
    .group_segment_fixed_size: 0
    .kernarg_segment_align: 8
    .kernarg_segment_size: 88
    .language:       OpenCL C
    .language_version:
      - 2
      - 0
    .max_flat_workgroup_size: 255
    .name:           fft_rtc_fwd_len1360_factors_17_5_16_wgs_255_tpt_85_halfLds_dp_ip_CI_unitstride_sbrr_dirReg
    .private_segment_fixed_size: 0
    .sgpr_count:     56
    .sgpr_spill_count: 0
    .symbol:         fft_rtc_fwd_len1360_factors_17_5_16_wgs_255_tpt_85_halfLds_dp_ip_CI_unitstride_sbrr_dirReg.kd
    .uniform_work_group_size: 1
    .uses_dynamic_stack: false
    .vgpr_count:     255
    .vgpr_spill_count: 0
    .wavefront_size: 32
    .workgroup_processor_mode: 1
amdhsa.target:   amdgcn-amd-amdhsa--gfx1030
amdhsa.version:
  - 1
  - 2
...

	.end_amdgpu_metadata
